;; amdgpu-corpus repo=ROCm/rocFFT kind=compiled arch=gfx906 opt=O3
	.text
	.amdgcn_target "amdgcn-amd-amdhsa--gfx906"
	.amdhsa_code_object_version 6
	.protected	bluestein_single_fwd_len154_dim1_half_op_CI_CI ; -- Begin function bluestein_single_fwd_len154_dim1_half_op_CI_CI
	.globl	bluestein_single_fwd_len154_dim1_half_op_CI_CI
	.p2align	8
	.type	bluestein_single_fwd_len154_dim1_half_op_CI_CI,@function
bluestein_single_fwd_len154_dim1_half_op_CI_CI: ; @bluestein_single_fwd_len154_dim1_half_op_CI_CI
; %bb.0:
	v_mul_u32_u24_e32 v1, 0xba3, v0
	s_load_dwordx4 s[0:3], s[4:5], 0x28
	v_lshrrev_b32_e32 v1, 16, v1
	v_mad_u64_u32 v[4:5], s[6:7], s6, 5, v[1:2]
	v_mov_b32_e32 v5, 0
	s_waitcnt lgkmcnt(0)
	v_cmp_gt_u64_e32 vcc, s[0:1], v[4:5]
	s_and_saveexec_b64 s[0:1], vcc
	s_cbranch_execz .LBB0_23
; %bb.1:
	s_mov_b32 s0, 0xcccccccd
	v_mul_hi_u32 v2, v4, s0
	v_mul_lo_u16_e32 v1, 22, v1
	s_load_dwordx2 s[6:7], s[4:5], 0x0
	s_load_dwordx2 s[12:13], s[4:5], 0x38
	v_sub_u16_e32 v19, v0, v1
	v_lshrrev_b32_e32 v0, 2, v2
	v_lshl_add_u32 v0, v0, 2, v0
	v_sub_u32_e32 v0, v4, v0
	v_mul_u32_u24_e32 v21, 0x9a, v0
	v_cmp_gt_u16_e64 s[0:1], 14, v19
	v_lshlrev_b32_e32 v20, 2, v19
	v_lshlrev_b32_e32 v22, 2, v21
	s_and_saveexec_b64 s[14:15], s[0:1]
	s_cbranch_execz .LBB0_3
; %bb.2:
	s_load_dwordx2 s[8:9], s[4:5], 0x18
	s_waitcnt lgkmcnt(0)
	s_load_dwordx4 s[8:11], s[8:9], 0x0
	s_waitcnt lgkmcnt(0)
	v_mad_u64_u32 v[0:1], s[16:17], s10, v4, 0
	v_mad_u64_u32 v[2:3], s[16:17], s8, v19, 0
	s_mul_i32 s16, s8, 56
	v_mad_u64_u32 v[5:6], s[10:11], s11, v4, v[1:2]
	v_mad_u64_u32 v[6:7], s[10:11], s9, v19, v[3:4]
	v_mov_b32_e32 v1, v5
	v_lshlrev_b64 v[0:1], 2, v[0:1]
	v_mov_b32_e32 v3, v6
	v_mov_b32_e32 v7, s3
	v_lshlrev_b64 v[2:3], 2, v[2:3]
	v_add_co_u32_e32 v8, vcc, s2, v0
	v_addc_co_u32_e32 v7, vcc, v7, v1, vcc
	v_add_co_u32_e32 v0, vcc, v8, v2
	s_mul_i32 s10, s9, 56
	s_mul_hi_u32 s11, s8, 56
	v_addc_co_u32_e32 v1, vcc, v7, v3, vcc
	s_add_i32 s10, s11, s10
	global_load_dword v9, v[0:1], off
	global_load_dword v10, v20, s[6:7]
	global_load_dword v11, v20, s[6:7] offset:56
	global_load_dword v12, v20, s[6:7] offset:112
	;; [unrolled: 1-line block ×7, first 2 shown]
	v_mov_b32_e32 v6, s10
	v_add_co_u32_e32 v0, vcc, s16, v0
	v_addc_co_u32_e32 v1, vcc, v1, v6, vcc
	global_load_dword v24, v[0:1], off
	v_or_b32_e32 v5, 0x70, v19
	v_mov_b32_e32 v18, s10
	v_add_co_u32_e32 v0, vcc, s16, v0
	v_mad_u64_u32 v[2:3], s[2:3], s8, v5, 0
	v_addc_co_u32_e32 v1, vcc, v1, v18, vcc
	global_load_dword v18, v[0:1], off
	v_mov_b32_e32 v23, s10
	v_add_co_u32_e32 v0, vcc, s16, v0
	v_mad_u64_u32 v[5:6], s[2:3], s9, v5, v[3:4]
	v_addc_co_u32_e32 v1, vcc, v1, v23, vcc
	global_load_dword v6, v[0:1], off
	v_mov_b32_e32 v25, s10
	v_add_co_u32_e32 v0, vcc, s16, v0
	v_addc_co_u32_e32 v1, vcc, v1, v25, vcc
	global_load_dword v25, v[0:1], off
	v_add_co_u32_e32 v0, vcc, s16, v0
	v_addc_co_u32_e32 v1, vcc, v1, v23, vcc
	v_mov_b32_e32 v3, v5
	global_load_dword v5, v[0:1], off
	v_mov_b32_e32 v26, s10
	v_add_co_u32_e32 v0, vcc, s16, v0
	v_addc_co_u32_e32 v1, vcc, v1, v26, vcc
	global_load_dword v23, v[0:1], off
	v_add_co_u32_e32 v0, vcc, s16, v0
	v_lshlrev_b64 v[2:3], 2, v[2:3]
	v_addc_co_u32_e32 v1, vcc, v1, v26, vcc
	global_load_dword v26, v[0:1], off
	v_add_co_u32_e32 v2, vcc, v8, v2
	v_addc_co_u32_e32 v3, vcc, v7, v3, vcc
	v_mov_b32_e32 v7, 0x70
	v_mad_u64_u32 v[0:1], s[2:3], s8, v7, v[0:1]
	global_load_dword v8, v[2:3], off
	global_load_dword v27, v20, s[6:7] offset:448
	s_mul_i32 s2, s9, 0x70
	v_add_u32_e32 v1, s2, v1
	global_load_dword v3, v[0:1], off
	global_load_dword v7, v20, s[6:7] offset:504
	v_mov_b32_e32 v2, s10
	v_add_co_u32_e32 v0, vcc, s16, v0
	v_addc_co_u32_e32 v1, vcc, v1, v2, vcc
	global_load_dword v2, v[0:1], off
	global_load_dword v28, v20, s[6:7] offset:560
	s_waitcnt vmcnt(21)
	v_lshrrev_b32_e32 v0, 16, v9
	s_waitcnt vmcnt(20)
	v_mul_f16_sdwa v1, v10, v9 dst_sel:DWORD dst_unused:UNUSED_PAD src0_sel:WORD_1 src1_sel:DWORD
	v_fma_f16 v1, v10, v0, -v1
	v_mul_f16_sdwa v0, v10, v0 dst_sel:DWORD dst_unused:UNUSED_PAD src0_sel:WORD_1 src1_sel:DWORD
	v_fma_f16 v0, v10, v9, v0
	v_lshl_add_u32 v9, v19, 2, v22
	v_pack_b32_f16 v0, v0, v1
	ds_write_b32 v9, v0
	v_add_u32_e32 v9, v22, v20
	s_waitcnt vmcnt(12)
	v_lshrrev_b32_e32 v0, 16, v24
	v_mul_f16_sdwa v1, v11, v0 dst_sel:DWORD dst_unused:UNUSED_PAD src0_sel:WORD_1 src1_sel:DWORD
	v_mul_f16_sdwa v10, v11, v24 dst_sel:DWORD dst_unused:UNUSED_PAD src0_sel:WORD_1 src1_sel:DWORD
	v_fma_f16 v1, v11, v24, v1
	v_fma_f16 v0, v11, v0, -v10
	v_pack_b32_f16 v0, v1, v0
	s_waitcnt vmcnt(11)
	v_lshrrev_b32_e32 v1, 16, v18
	v_mul_f16_sdwa v10, v12, v1 dst_sel:DWORD dst_unused:UNUSED_PAD src0_sel:WORD_1 src1_sel:DWORD
	v_mul_f16_sdwa v11, v12, v18 dst_sel:DWORD dst_unused:UNUSED_PAD src0_sel:WORD_1 src1_sel:DWORD
	v_fma_f16 v10, v12, v18, v10
	v_fma_f16 v1, v12, v1, -v11
	v_pack_b32_f16 v1, v10, v1
	ds_write2_b32 v9, v0, v1 offset0:14 offset1:28
	s_waitcnt vmcnt(10)
	v_lshrrev_b32_e32 v0, 16, v6
	v_mul_f16_sdwa v1, v13, v0 dst_sel:DWORD dst_unused:UNUSED_PAD src0_sel:WORD_1 src1_sel:DWORD
	v_fma_f16 v1, v13, v6, v1
	v_mul_f16_sdwa v6, v13, v6 dst_sel:DWORD dst_unused:UNUSED_PAD src0_sel:WORD_1 src1_sel:DWORD
	v_fma_f16 v0, v13, v0, -v6
	v_pack_b32_f16 v0, v1, v0
	s_waitcnt vmcnt(9)
	v_lshrrev_b32_e32 v1, 16, v25
	v_mul_f16_sdwa v6, v14, v1 dst_sel:DWORD dst_unused:UNUSED_PAD src0_sel:WORD_1 src1_sel:DWORD
	v_mul_f16_sdwa v10, v14, v25 dst_sel:DWORD dst_unused:UNUSED_PAD src0_sel:WORD_1 src1_sel:DWORD
	v_fma_f16 v6, v14, v25, v6
	v_fma_f16 v1, v14, v1, -v10
	v_pack_b32_f16 v1, v6, v1
	ds_write2_b32 v9, v0, v1 offset0:42 offset1:56
	s_waitcnt vmcnt(8)
	v_lshrrev_b32_e32 v0, 16, v5
	v_mul_f16_sdwa v1, v15, v0 dst_sel:DWORD dst_unused:UNUSED_PAD src0_sel:WORD_1 src1_sel:DWORD
	v_fma_f16 v1, v15, v5, v1
	v_mul_f16_sdwa v5, v15, v5 dst_sel:DWORD dst_unused:UNUSED_PAD src0_sel:WORD_1 src1_sel:DWORD
	v_fma_f16 v0, v15, v0, -v5
	v_pack_b32_f16 v0, v1, v0
	s_waitcnt vmcnt(7)
	v_lshrrev_b32_e32 v1, 16, v23
	v_mul_f16_sdwa v5, v16, v1 dst_sel:DWORD dst_unused:UNUSED_PAD src0_sel:WORD_1 src1_sel:DWORD
	v_mul_f16_sdwa v6, v16, v23 dst_sel:DWORD dst_unused:UNUSED_PAD src0_sel:WORD_1 src1_sel:DWORD
	v_fma_f16 v5, v16, v23, v5
	v_fma_f16 v1, v16, v1, -v6
	v_pack_b32_f16 v1, v5, v1
	ds_write2_b32 v9, v0, v1 offset0:70 offset1:84
	s_waitcnt vmcnt(6)
	v_lshrrev_b32_e32 v0, 16, v26
	v_mul_f16_sdwa v1, v17, v0 dst_sel:DWORD dst_unused:UNUSED_PAD src0_sel:WORD_1 src1_sel:DWORD
	v_mul_f16_sdwa v5, v17, v26 dst_sel:DWORD dst_unused:UNUSED_PAD src0_sel:WORD_1 src1_sel:DWORD
	v_fma_f16 v1, v17, v26, v1
	v_fma_f16 v0, v17, v0, -v5
	v_pack_b32_f16 v0, v1, v0
	s_waitcnt vmcnt(5)
	v_lshrrev_b32_e32 v1, 16, v8
	s_waitcnt vmcnt(4)
	v_mul_f16_sdwa v5, v27, v1 dst_sel:DWORD dst_unused:UNUSED_PAD src0_sel:WORD_1 src1_sel:DWORD
	v_mul_f16_sdwa v6, v27, v8 dst_sel:DWORD dst_unused:UNUSED_PAD src0_sel:WORD_1 src1_sel:DWORD
	v_fma_f16 v5, v27, v8, v5
	v_fma_f16 v1, v27, v1, -v6
	v_pack_b32_f16 v1, v5, v1
	ds_write2_b32 v9, v0, v1 offset0:98 offset1:112
	s_waitcnt vmcnt(3)
	v_lshrrev_b32_e32 v0, 16, v3
	s_waitcnt vmcnt(2)
	v_mul_f16_sdwa v1, v7, v0 dst_sel:DWORD dst_unused:UNUSED_PAD src0_sel:WORD_1 src1_sel:DWORD
	v_fma_f16 v1, v7, v3, v1
	v_mul_f16_sdwa v3, v7, v3 dst_sel:DWORD dst_unused:UNUSED_PAD src0_sel:WORD_1 src1_sel:DWORD
	v_fma_f16 v0, v7, v0, -v3
	v_pack_b32_f16 v0, v1, v0
	s_waitcnt vmcnt(1)
	v_lshrrev_b32_e32 v1, 16, v2
	s_waitcnt vmcnt(0)
	v_mul_f16_sdwa v3, v28, v1 dst_sel:DWORD dst_unused:UNUSED_PAD src0_sel:WORD_1 src1_sel:DWORD
	v_fma_f16 v3, v28, v2, v3
	v_mul_f16_sdwa v2, v28, v2 dst_sel:DWORD dst_unused:UNUSED_PAD src0_sel:WORD_1 src1_sel:DWORD
	v_fma_f16 v1, v28, v1, -v2
	v_pack_b32_f16 v1, v3, v1
	ds_write2_b32 v9, v0, v1 offset0:126 offset1:140
.LBB0_3:
	s_or_b64 exec, exec, s[14:15]
	s_load_dwordx2 s[2:3], s[4:5], 0x20
	s_load_dwordx2 s[14:15], s[4:5], 0x8
	v_mov_b32_e32 v0, 0
	s_waitcnt lgkmcnt(0)
	s_barrier
	s_waitcnt lgkmcnt(0)
                                        ; implicit-def: $vgpr13
                                        ; implicit-def: $vgpr3
                                        ; implicit-def: $vgpr8
                                        ; implicit-def: $vgpr10
                                        ; implicit-def: $vgpr12
	s_and_saveexec_b64 s[4:5], s[0:1]
	s_cbranch_execz .LBB0_5
; %bb.4:
	v_lshl_add_u32 v5, v21, 2, v20
	ds_read2_b32 v[0:1], v5 offset1:14
	ds_read2_b32 v[11:12], v5 offset0:28 offset1:42
	ds_read2_b32 v[9:10], v5 offset0:56 offset1:70
	;; [unrolled: 1-line block ×4, first 2 shown]
	ds_read_b32 v13, v5 offset:560
.LBB0_5:
	s_or_b64 exec, exec, s[4:5]
	s_waitcnt lgkmcnt(0)
	v_pk_add_f16 v15, v1, v13 neg_lo:[0,1] neg_hi:[0,1]
	s_mov_b32 s4, 0xb853
	v_pk_add_f16 v14, v13, v1
	s_movk_i32 s8, 0x3abb
	v_mul_f16_sdwa v25, v15, s4 dst_sel:DWORD dst_unused:UNUSED_PAD src0_sel:WORD_1 src1_sel:DWORD
	s_mov_b32 s5, 0xbb47
	v_pk_add_f16 v18, v11, v3 neg_lo:[0,1] neg_hi:[0,1]
	v_fma_f16 v5, v14, s8, v25
	v_lshrrev_b32_e32 v40, 16, v14
	s_movk_i32 s9, 0x36a6
	v_mul_f16_e32 v30, 0xbb47, v15
	s_mov_b32 s16, 0xbbeb
	v_pk_add_f16 v17, v3, v11
	v_mul_f16_sdwa v31, v18, s5 dst_sel:DWORD dst_unused:UNUSED_PAD src0_sel:WORD_1 src1_sel:DWORD
	v_add_f16_e32 v5, v5, v0
	v_fma_f16 v6, v40, s9, -v30
	s_mov_b32 s10, 0xb08e
	v_mul_f16_sdwa v33, v15, s16 dst_sel:DWORD dst_unused:UNUSED_PAD src0_sel:WORD_1 src1_sel:DWORD
	s_mov_b32 s11, 0xb93d
	v_fma_f16 v23, v17, s9, v31
	v_lshrrev_b32_e32 v47, 16, v17
	v_mul_f16_e32 v35, 0xba0c, v18
	s_movk_i32 s5, 0x3482
	v_add_f16_sdwa v6, v6, v0 dst_sel:DWORD dst_unused:UNUSED_PAD src0_sel:DWORD src1_sel:WORD_1
	v_fma_f16 v16, v14, s10, v33
	v_add_f16_e32 v5, v23, v5
	v_fma_f16 v23, v47, s11, -v35
	s_mov_b32 s17, 0xbbad
	v_mul_f16_sdwa v38, v18, s5 dst_sel:DWORD dst_unused:UNUSED_PAD src0_sel:WORD_1 src1_sel:DWORD
	v_add_f16_e32 v16, v16, v0
	v_add_f16_e32 v6, v23, v6
	v_fma_f16 v23, v17, s17, v38
	v_mul_f16_e32 v43, 0xbbeb, v15
	v_add_f16_e32 v16, v23, v16
	v_fma_f16 v23, v40, s10, -v43
	v_mul_f16_e32 v42, 0x3482, v18
	s_mov_b32 s18, 0xba0c
	v_add_f16_sdwa v23, v23, v0 dst_sel:DWORD dst_unused:UNUSED_PAD src0_sel:DWORD src1_sel:WORD_1
	v_fma_f16 v24, v47, s17, -v42
	v_mul_f16_sdwa v50, v15, s18 dst_sel:DWORD dst_unused:UNUSED_PAD src0_sel:WORD_1 src1_sel:DWORD
	s_movk_i32 s5, 0x3beb
	v_add_f16_e32 v23, v24, v23
	v_fma_f16 v24, v14, s11, v50
	v_mul_f16_sdwa v51, v18, s5 dst_sel:DWORD dst_unused:UNUSED_PAD src0_sel:WORD_1 src1_sel:DWORD
	v_add_f16_e32 v24, v24, v0
	v_fma_f16 v26, v17, s10, v51
	v_mul_f16_e32 v60, 0xba0c, v15
	v_add_f16_e32 v24, v26, v24
	v_fma_f16 v26, v40, s11, -v60
	v_mul_f16_e32 v61, 0x3beb, v18
	v_pk_add_f16 v32, v12, v2 neg_lo:[0,1] neg_hi:[0,1]
	v_add_f16_sdwa v26, v26, v0 dst_sel:DWORD dst_unused:UNUSED_PAD src0_sel:DWORD src1_sel:WORD_1
	v_fma_f16 v27, v47, s10, -v61
	v_pk_add_f16 v29, v2, v12
	v_mul_f16_sdwa v37, v32, s16 dst_sel:DWORD dst_unused:UNUSED_PAD src0_sel:WORD_1 src1_sel:DWORD
	v_add_f16_e32 v26, v27, v26
	v_fma_f16 v27, v29, s10, v37
	v_lshrrev_b32_e32 v54, 16, v29
	v_mul_f16_e32 v44, 0x3482, v32
	s_movk_i32 s19, 0x3b47
	v_add_f16_e32 v5, v27, v5
	v_fma_f16 v27, v54, s17, -v44
	v_mul_f16_sdwa v48, v32, s19 dst_sel:DWORD dst_unused:UNUSED_PAD src0_sel:WORD_1 src1_sel:DWORD
	v_add_f16_e32 v6, v27, v6
	v_fma_f16 v27, v29, s9, v48
	v_mul_f16_e32 v53, 0x3b47, v32
	v_add_f16_e32 v16, v27, v16
	v_fma_f16 v27, v54, s9, -v53
	v_mul_f16_sdwa v57, v32, s4 dst_sel:DWORD dst_unused:UNUSED_PAD src0_sel:WORD_1 src1_sel:DWORD
	v_add_f16_e32 v23, v27, v23
	v_fma_f16 v27, v29, s8, v57
	v_mul_f16_e32 v65, 0xb853, v32
	v_pk_add_f16 v36, v9, v8 neg_lo:[0,1] neg_hi:[0,1]
	v_add_f16_e32 v24, v27, v24
	v_fma_f16 v27, v54, s8, -v65
	v_pk_add_f16 v34, v8, v9
	v_mul_f16_sdwa v46, v36, s18 dst_sel:DWORD dst_unused:UNUSED_PAD src0_sel:WORD_1 src1_sel:DWORD
	v_add_f16_e32 v26, v27, v26
	v_fma_f16 v27, v34, s11, v46
	v_lshrrev_b32_e32 v58, 16, v34
	v_mul_f16_e32 v49, 0x3beb, v36
	v_add_f16_e32 v5, v27, v5
	v_fma_f16 v27, v58, s10, -v49
	v_mul_f16_sdwa v55, v36, s4 dst_sel:DWORD dst_unused:UNUSED_PAD src0_sel:WORD_1 src1_sel:DWORD
	v_add_f16_e32 v27, v27, v6
	v_fma_f16 v6, v34, s8, v55
	v_mul_f16_e32 v56, 0xb853, v36
	s_mov_b32 s20, 0xb482
	v_add_f16_e32 v6, v6, v16
	v_fma_f16 v16, v58, s8, -v56
	v_mul_f16_sdwa v66, v36, s20 dst_sel:DWORD dst_unused:UNUSED_PAD src0_sel:WORD_1 src1_sel:DWORD
	v_add_f16_e32 v16, v16, v23
	v_fma_f16 v23, v34, s17, v66
	v_mul_f16_e32 v75, 0xb482, v36
	v_pk_add_f16 v45, v10, v7 neg_lo:[0,1] neg_hi:[0,1]
	s_mov_b32 s4, 0x3abb36a6
	v_add_f16_e32 v23, v23, v24
	v_fma_f16 v24, v58, s17, -v75
	v_pk_add_f16 v39, v7, v10
	v_mul_f16_sdwa v52, v45, s20 dst_sel:DWORD dst_unused:UNUSED_PAD src0_sel:WORD_1 src1_sel:DWORD
	s_mov_b32 s5, 0xbb47b853
	s_mov_b32 s21, 0x36a6b93d
	v_pk_mul_f16 v70, v14, s4
	v_add_f16_e32 v28, v24, v26
	v_fma_f16 v24, v39, s17, v52
	s_mov_b32 s22, 0xba0cbb47
	s_mov_b32 s23, 0xb08ebbad
	v_pk_fma_f16 v59, v15, s5, v70 op_sel:[0,0,1] op_sel_hi:[1,1,0]
	v_pk_mul_f16 v71, v17, s21
	v_add_f16_e32 v24, v24, v5
	s_mov_b32 s24, 0x3482bbeb
	s_mov_b32 s25, 0xb93db08e
	v_pk_fma_f16 v62, v18, s22, v71 op_sel:[0,0,1] op_sel_hi:[1,1,0]
	v_add_f16_sdwa v5, v59, v0 dst_sel:DWORD dst_unused:UNUSED_PAD src0_sel:WORD_1 src1_sel:DWORD
	v_pk_mul_f16 v72, v29, s23
	s_mov_b32 s26, 0x3bebba0c
	s_mov_b32 s27, 0xbbad3abb
	v_add_f16_sdwa v5, v62, v5 dst_sel:DWORD dst_unused:UNUSED_PAD src0_sel:WORD_1 src1_sel:DWORD
	v_pk_fma_f16 v63, v32, s24, v72 op_sel:[0,0,1] op_sel_hi:[1,1,0]
	v_pk_mul_f16 v73, v34, s25
	s_mov_b32 s28, 0x3853b482
	v_add_f16_sdwa v5, v63, v5 dst_sel:DWORD dst_unused:UNUSED_PAD src0_sel:WORD_1 src1_sel:DWORD
	v_pk_fma_f16 v64, v36, s26, v73 op_sel:[0,0,1] op_sel_hi:[1,1,0]
	v_mul_f16_sdwa v69, v45, s18 dst_sel:DWORD dst_unused:UNUSED_PAD src0_sel:WORD_1 src1_sel:DWORD
	v_pk_mul_f16 v74, v39, s27
	v_add_f16_sdwa v26, v64, v5 dst_sel:DWORD dst_unused:UNUSED_PAD src0_sel:WORD_1 src1_sel:DWORD
	v_fma_f16 v5, v39, s11, v69
	v_pk_fma_f16 v67, v45, s28, v74 op_sel:[0,0,1] op_sel_hi:[1,1,0]
	v_lshrrev_b32_e32 v77, 16, v39
	v_mul_f16_e32 v68, 0x3853, v45
	v_add_f16_e32 v5, v5, v6
	v_add_f16_sdwa v6, v67, v26 dst_sel:DWORD dst_unused:UNUSED_PAD src0_sel:WORD_1 src1_sel:DWORD
	v_fma_f16 v26, v77, s8, -v68
	v_mul_f16_e32 v76, 0xba0c, v45
	v_add_f16_e32 v26, v26, v27
	v_fma_f16 v27, v77, s11, -v76
	v_mul_f16_e32 v79, 0x3b47, v45
	v_add_f16_e32 v27, v27, v16
	v_fma_f16 v16, v77, s9, -v79
	v_pk_fma_f16 v70, v15, s5, v70 op_sel:[0,0,1] op_sel_hi:[1,1,0] neg_lo:[1,0,0] neg_hi:[1,0,0]
	v_add_f16_e32 v41, v16, v28
	v_pk_fma_f16 v71, v18, s22, v71 op_sel:[0,0,1] op_sel_hi:[1,1,0] neg_lo:[1,0,0] neg_hi:[1,0,0]
	v_add_f16_sdwa v16, v70, v0 dst_sel:DWORD dst_unused:UNUSED_PAD src0_sel:DWORD src1_sel:WORD_1
	v_pk_fma_f16 v72, v32, s24, v72 op_sel:[0,0,1] op_sel_hi:[1,1,0] neg_lo:[1,0,0] neg_hi:[1,0,0]
	v_add_f16_e32 v16, v71, v16
	v_pk_fma_f16 v73, v36, s26, v73 op_sel:[0,0,1] op_sel_hi:[1,1,0] neg_lo:[1,0,0] neg_hi:[1,0,0]
	v_add_f16_e32 v16, v72, v16
	v_pk_fma_f16 v74, v45, s28, v74 op_sel:[0,0,1] op_sel_hi:[1,1,0] neg_lo:[1,0,0] neg_hi:[1,0,0]
	v_add_f16_e32 v16, v73, v16
	v_mul_f16_sdwa v78, v45, s19 dst_sel:DWORD dst_unused:UNUSED_PAD src0_sel:WORD_1 src1_sel:DWORD
	v_add_f16_e32 v28, v74, v16
	v_fma_f16 v16, v39, s9, v78
	s_movk_i32 s21, 0x3853
	v_add_f16_e32 v16, v16, v23
	v_mul_lo_u16_e32 v23, 11, v19
	s_barrier
	s_and_saveexec_b64 s[4:5], s[0:1]
	s_cbranch_execz .LBB0_7
; %bb.6:
	v_mul_f16_e32 v82, 0xb93d, v40
	v_add_f16_e32 v60, v60, v82
	v_mul_f16_e32 v82, 0xb08e, v47
	v_add_f16_e32 v61, v61, v82
	v_add_f16_sdwa v60, v60, v0 dst_sel:DWORD dst_unused:UNUSED_PAD src0_sel:DWORD src1_sel:WORD_1
	v_add_f16_e32 v60, v61, v60
	v_mul_f16_e32 v61, 0x3abb, v54
	v_add_f16_e32 v61, v65, v61
	v_mul_f16_e32 v65, 0xb93d, v14
	v_sub_f16_e32 v50, v65, v50
	v_mul_f16_e32 v65, 0xb08e, v17
	v_sub_f16_e32 v51, v65, v51
	v_add_f16_e32 v50, v50, v0
	v_add_f16_e32 v50, v51, v50
	v_mul_f16_e32 v51, 0x3abb, v29
	v_pk_add_f16 v1, v1, v0
	v_add_f16_e32 v60, v61, v60
	v_mul_f16_e32 v61, 0xbbad, v58
	v_sub_f16_e32 v51, v51, v57
	v_pk_add_f16 v1, v11, v1
	v_add_f16_e32 v61, v75, v61
	v_add_f16_e32 v50, v51, v50
	v_mul_f16_e32 v51, 0xbbad, v34
	v_pk_add_f16 v1, v12, v1
	v_mul_f16_e32 v80, 0x3abb, v14
	v_mul_f16_e32 v81, 0x36a6, v40
	v_add_f16_e32 v60, v61, v60
	v_mul_f16_e32 v61, 0x36a6, v77
	v_sub_f16_e32 v51, v51, v66
	v_pk_add_f16 v1, v9, v1
	v_mul_f16_e32 v82, 0xb08e, v14
	v_mul_f16_e32 v40, 0xb08e, v40
	v_mul_f16_e32 v75, 0x36a6, v17
	v_add_f16_e32 v61, v79, v61
	v_mul_f16_e32 v79, 0xb93d, v47
	v_add_f16_e32 v50, v51, v50
	v_mul_f16_e32 v51, 0x36a6, v39
	v_add_f16_e32 v30, v30, v81
	v_sub_f16_e32 v25, v80, v25
	v_pk_add_f16 v1, v10, v1
	v_add_f16_e32 v60, v61, v60
	v_mul_f16_e32 v61, 0xbbad, v17
	v_mul_f16_e32 v47, 0xbbad, v47
	;; [unrolled: 1-line block ×4, first 2 shown]
	v_sub_f16_e32 v51, v51, v78
	v_add_f16_e32 v40, v43, v40
	v_sub_f16_e32 v33, v82, v33
	v_add_f16_sdwa v30, v30, v0 dst_sel:DWORD dst_unused:UNUSED_PAD src0_sel:DWORD src1_sel:WORD_1
	v_add_f16_e32 v35, v35, v79
	v_add_f16_e32 v25, v25, v0
	v_sub_f16_e32 v31, v75, v31
	v_pk_add_f16 v1, v7, v1
	v_mul_f16_e32 v66, 0x36a6, v29
	v_mul_f16_e32 v78, 0xb93d, v34
	v_add_f16_e32 v50, v51, v50
	v_mul_f16_e32 v51, 0xb08e, v58
	v_add_f16_e32 v42, v42, v47
	v_add_f16_sdwa v40, v40, v0 dst_sel:DWORD dst_unused:UNUSED_PAD src0_sel:DWORD src1_sel:WORD_1
	v_add_f16_e32 v33, v33, v0
	v_sub_f16_e32 v38, v61, v38
	v_add_f16_e32 v30, v35, v30
	v_add_f16_e32 v35, v44, v57
	;; [unrolled: 1-line block ×3, first 2 shown]
	v_sub_f16_e32 v31, v65, v37
	v_pk_add_f16 v1, v8, v1
	v_mul_f16_e32 v54, 0x36a6, v54
	v_mul_f16_e32 v43, 0x3abb, v34
	;; [unrolled: 1-line block ×3, first 2 shown]
	v_add_f16_e32 v40, v42, v40
	v_mul_f16_e32 v42, 0x3abb, v77
	v_add_f16_e32 v33, v38, v33
	v_sub_f16_e32 v38, v66, v48
	v_add_f16_e32 v30, v35, v30
	v_add_f16_e32 v35, v49, v51
	;; [unrolled: 1-line block ×3, first 2 shown]
	v_sub_f16_e32 v31, v78, v46
	v_pk_add_f16 v1, v2, v1
	v_add_f16_e32 v53, v53, v54
	v_mul_f16_e32 v54, 0xb93d, v39
	v_add_f16_e32 v33, v38, v33
	v_sub_f16_e32 v38, v43, v55
	v_add_f16_e32 v30, v35, v30
	v_add_f16_e32 v35, v68, v42
	s_mov_b32 s22, 0xffff
	v_add_f16_e32 v25, v31, v25
	v_sub_f16_e32 v31, v47, v52
	v_pk_add_f16 v1, v3, v1
	v_add_f16_e32 v33, v38, v33
	v_sub_f16_e32 v38, v54, v69
	v_add_f16_e32 v30, v35, v30
	v_bfi_b32 v35, s22, v59, v70
	v_add_f16_e32 v25, v31, v25
	v_add_lshl_u32 v31, v21, v23, 2
	v_pk_add_f16 v1, v13, v1
	v_add_f16_e32 v33, v38, v33
	v_bfi_b32 v38, s22, v62, v71
	ds_write_b32 v31, v1
	v_pk_add_f16 v1, v35, v0 op_sel:[0,1] op_sel_hi:[1,0]
	v_bfi_b32 v42, s22, v63, v72
	v_pk_add_f16 v1, v38, v1
	v_mul_f16_e32 v58, 0x3abb, v58
	v_bfi_b32 v43, s22, v64, v73
	v_pk_add_f16 v1, v42, v1
	v_mul_f16_e32 v77, 0xb93d, v77
	v_add_f16_e32 v40, v53, v40
	v_add_f16_e32 v53, v56, v58
	v_bfi_b32 v44, s22, v67, v74
	v_pk_add_f16 v1, v43, v1
	v_add_f16_e32 v40, v53, v40
	v_add_f16_e32 v53, v76, v77
	v_pk_add_f16 v1, v44, v1
	v_add_f16_e32 v40, v53, v40
	v_alignbit_b32 v2, v30, v1, 16
	v_pack_b32_f16 v1, v25, v1
	ds_write2_b32 v31, v1, v2 offset0:1 offset1:2
	v_pack_b32_f16 v1, v50, v60
	v_pack_b32_f16 v2, v33, v40
	ds_write2_b32 v31, v2, v1 offset0:3 offset1:4
	v_pk_mul_f16 v1, v15, s20 op_sel_hi:[1,0]
	v_pk_mul_f16 v2, v18, s21 op_sel_hi:[1,0]
	v_pk_fma_f16 v9, v14, s17, v1 op_sel:[0,0,1] op_sel_hi:[1,0,0] neg_lo:[0,0,1] neg_hi:[0,0,1]
	v_pk_fma_f16 v1, v14, s17, v1 op_sel:[0,0,1] op_sel_hi:[1,0,0]
	v_bfi_b32 v10, s22, v9, v1
	v_pk_fma_f16 v11, v17, s8, v2 op_sel:[0,0,1] op_sel_hi:[1,0,0] neg_lo:[0,0,1] neg_hi:[0,0,1]
	v_pk_fma_f16 v2, v17, s8, v2 op_sel:[0,0,1] op_sel_hi:[1,0,0]
	v_pk_mul_f16 v3, v32, s18 op_sel_hi:[1,0]
	v_pk_add_f16 v10, v10, v0
	v_bfi_b32 v12, s22, v11, v2
	v_pk_add_f16 v10, v12, v10
	v_pk_fma_f16 v12, v29, s11, v3 op_sel:[0,0,1] op_sel_hi:[1,0,0] neg_lo:[0,0,1] neg_hi:[0,0,1]
	v_pk_fma_f16 v3, v29, s11, v3 op_sel:[0,0,1] op_sel_hi:[1,0,0]
	v_pk_mul_f16 v7, v36, s19 op_sel_hi:[1,0]
	v_bfi_b32 v13, s22, v12, v3
	v_bfi_b32 v1, s22, v1, v9
	v_pk_add_f16 v10, v13, v10
	v_pk_fma_f16 v13, v34, s9, v7 op_sel:[0,0,1] op_sel_hi:[1,0,0] neg_lo:[0,0,1] neg_hi:[0,0,1]
	v_pk_fma_f16 v7, v34, s9, v7 op_sel:[0,0,1] op_sel_hi:[1,0,0]
	v_pk_add_f16 v0, v1, v0
	v_bfi_b32 v1, s22, v2, v11
	v_pk_mul_f16 v8, v45, s16 op_sel_hi:[1,0]
	v_bfi_b32 v14, s22, v13, v7
	v_pk_add_f16 v0, v1, v0
	v_bfi_b32 v1, s22, v3, v12
	v_pk_add_f16 v10, v14, v10
	v_pk_fma_f16 v14, v39, s10, v8 op_sel:[0,0,1] op_sel_hi:[1,0,0] neg_lo:[0,0,1] neg_hi:[0,0,1]
	v_pk_fma_f16 v8, v39, s10, v8 op_sel:[0,0,1] op_sel_hi:[1,0,0]
	v_pk_add_f16 v0, v1, v0
	v_bfi_b32 v1, s22, v7, v13
	v_bfi_b32 v15, s22, v14, v8
	v_pk_add_f16 v0, v1, v0
	v_bfi_b32 v1, s22, v8, v14
	v_pk_add_f16 v10, v15, v10
	v_pk_add_f16 v0, v1, v0
	s_mov_b32 s8, 0x5040100
	ds_write2_b32 v31, v10, v0 offset0:5 offset1:6
	v_perm_b32 v0, v27, v5, s8
	v_perm_b32 v1, v41, v16, s8
	ds_write2_b32 v31, v1, v0 offset0:7 offset1:8
	v_perm_b32 v0, v28, v24, s8
	v_perm_b32 v1, v26, v6, s8
	ds_write2_b32 v31, v1, v0 offset0:9 offset1:10
.LBB0_7:
	s_or_b64 exec, exec, s[4:5]
	v_add_co_u32_e32 v9, vcc, -11, v19
	s_load_dwordx4 s[8:11], s[2:3], 0x0
	v_addc_co_u32_e64 v10, s[2:3], 0, -1, vcc
	v_cmp_gt_u16_e64 s[2:3], 11, v19
	v_cndmask_b32_e64 v29, v9, v19, s[2:3]
	v_mul_hi_i32_i24_e32 v1, 6, v29
	v_mul_i32_i24_e32 v0, 6, v29
	v_lshlrev_b64 v[0:1], 2, v[0:1]
	v_mov_b32_e32 v2, s15
	v_add_co_u32_e32 v11, vcc, s14, v0
	v_addc_co_u32_e32 v12, vcc, v2, v1, vcc
	s_waitcnt lgkmcnt(0)
	s_barrier
	global_load_dwordx4 v[0:3], v[11:12], off
	global_load_dwordx2 v[7:8], v[11:12], off offset:16
	v_add_lshl_u32 v25, v21, v19, 2
	ds_read2_b32 v[11:12], v25 offset1:22
	ds_read2_b32 v[13:14], v25 offset0:44 offset1:66
	ds_read2_b32 v[17:18], v25 offset0:88 offset1:110
	ds_read_b32 v15, v25 offset:528
	s_movk_i32 s4, 0x2b26
	s_mov_b32 s16, 0xbcab
	s_waitcnt lgkmcnt(3)
	v_lshrrev_b32_e32 v30, 16, v12
	s_waitcnt lgkmcnt(2)
	v_lshrrev_b32_e32 v31, 16, v13
	v_lshrrev_b32_e32 v32, 16, v14
	s_waitcnt lgkmcnt(1)
	v_lshrrev_b32_e32 v33, 16, v17
	;; [unrolled: 3-line block ×3, first 2 shown]
	s_movk_i32 s5, 0x3b00
	v_cmp_lt_u16_e32 vcc, 10, v19
	s_waitcnt vmcnt(0)
	s_barrier
	v_mul_f16_sdwa v36, v30, v0 dst_sel:DWORD dst_unused:UNUSED_PAD src0_sel:DWORD src1_sel:WORD_1
	v_mul_f16_sdwa v37, v12, v0 dst_sel:DWORD dst_unused:UNUSED_PAD src0_sel:DWORD src1_sel:WORD_1
	;; [unrolled: 1-line block ×12, first 2 shown]
	v_fma_f16 v12, v12, v0, -v36
	v_fma_f16 v30, v30, v0, v37
	v_fma_f16 v13, v13, v1, -v38
	v_fma_f16 v31, v31, v1, v39
	;; [unrolled: 2-line block ×6, first 2 shown]
	v_add_f16_e32 v36, v12, v15
	v_add_f16_e32 v37, v30, v35
	v_sub_f16_e32 v12, v12, v15
	v_sub_f16_e32 v15, v30, v35
	v_add_f16_e32 v30, v13, v18
	v_add_f16_e32 v35, v31, v34
	v_sub_f16_e32 v13, v13, v18
	v_sub_f16_e32 v18, v31, v34
	;; [unrolled: 4-line block ×4, first 2 shown]
	v_sub_f16_e32 v36, v36, v31
	v_sub_f16_e32 v37, v37, v34
	;; [unrolled: 1-line block ×4, first 2 shown]
	v_add_f16_e32 v40, v14, v13
	v_add_f16_e32 v31, v31, v32
	;; [unrolled: 1-line block ×3, first 2 shown]
	v_mul_f16_e32 v33, 0x3a52, v36
	v_mul_f16_e32 v34, 0x3a52, v37
	v_sub_f16_e32 v43, v14, v13
	v_sub_f16_e32 v14, v12, v14
	;; [unrolled: 1-line block ×3, first 2 shown]
	v_add_f16_e32 v12, v40, v12
	v_mul_f16_e32 v37, 0x2b26, v30
	v_mul_f16_e32 v40, 0x2b26, v35
	v_fma_f16 v30, v30, s4, v33
	v_fma_f16 v35, v35, s4, v34
	s_movk_i32 s4, 0x39e0
	v_add_f16_e32 v42, v17, v18
	v_sub_f16_e32 v44, v17, v18
	v_fma_f16 v37, v38, s4, -v37
	v_fma_f16 v40, v39, s4, -v40
	s_mov_b32 s4, 0xb9e0
	v_sub_f16_e32 v17, v15, v17
	v_sub_f16_e32 v18, v18, v15
	v_add_f16_e32 v15, v42, v15
	v_mul_f16_e32 v42, 0xb846, v43
	v_mul_f16_e32 v43, 0xb846, v44
	v_fma_f16 v33, v38, s4, -v33
	v_fma_f16 v34, v39, s4, -v34
	s_movk_i32 s4, 0x3574
	v_add_f16_e32 v36, v11, v31
	v_add_f16_sdwa v11, v11, v32 dst_sel:DWORD dst_unused:UNUSED_PAD src0_sel:WORD_1 src1_sel:DWORD
	v_mul_f16_e32 v44, 0x3b00, v13
	v_mul_f16_e32 v45, 0x3b00, v18
	v_fma_f16 v38, v14, s4, v42
	v_fma_f16 v39, v17, s4, v43
	s_mov_b32 s4, 0xb574
	v_fma_f16 v31, v31, s16, v36
	v_fma_f16 v32, v32, s16, v11
	v_fma_f16 v14, v14, s4, -v44
	v_fma_f16 v17, v17, s4, -v45
	s_movk_i32 s4, 0x370e
	v_fma_f16 v13, v13, s5, -v42
	v_fma_f16 v18, v18, s5, -v43
	v_add_f16_e32 v30, v30, v31
	v_add_f16_e32 v35, v35, v32
	;; [unrolled: 1-line block ×4, first 2 shown]
	v_fma_f16 v34, v15, s4, v39
	v_add_f16_e32 v37, v37, v31
	v_add_f16_e32 v31, v33, v31
	v_fma_f16 v33, v12, s4, v38
	v_fma_f16 v13, v12, s4, v13
	;; [unrolled: 1-line block ×5, first 2 shown]
	v_add_f16_e32 v17, v34, v30
	v_sub_f16_e32 v15, v30, v34
	v_mov_b32_e32 v30, 0x4d
	v_cndmask_b32_e32 v30, 0, v30, vcc
	v_sub_f16_e32 v38, v35, v33
	v_add_u32_e32 v29, v29, v30
	v_add_f16_e32 v39, v14, v31
	v_sub_f16_e32 v43, v32, v12
	v_sub_f16_e32 v44, v37, v18
	v_add_f16_e32 v45, v13, v40
	v_sub_f16_e32 v14, v31, v14
	v_add_lshl_u32 v31, v21, v29, 2
	v_pack_b32_f16 v11, v36, v11
	v_pack_b32_f16 v17, v17, v38
	v_add_f16_e32 v18, v18, v37
	v_sub_f16_e32 v13, v40, v13
	v_add_f16_e32 v12, v12, v32
	ds_write2_b32 v31, v11, v17 offset1:11
	v_pack_b32_f16 v11, v39, v43
	v_pack_b32_f16 v17, v44, v45
	v_add_f16_e32 v42, v33, v35
	ds_write2_b32 v31, v11, v17 offset0:22 offset1:33
	v_pack_b32_f16 v11, v18, v13
	v_pack_b32_f16 v12, v14, v12
	ds_write2_b32 v31, v11, v12 offset0:44 offset1:55
	v_pack_b32_f16 v11, v15, v42
	ds_write_b32 v31, v11 offset:264
	s_waitcnt lgkmcnt(0)
	s_barrier
	ds_read2_b32 v[17:18], v25 offset1:22
	ds_read2_b32 v[13:14], v25 offset0:44 offset1:77
	ds_read2_b32 v[11:12], v25 offset0:99 offset1:121
	s_and_saveexec_b64 s[4:5], s[2:3]
	s_cbranch_execz .LBB0_9
; %bb.8:
	ds_read2_b32 v[15:16], v25 offset0:66 offset1:143
	v_add_co_u32_e32 v9, vcc, 0x42, v19
	v_addc_co_u32_e64 v10, s[16:17], 0, 0, vcc
	s_waitcnt lgkmcnt(0)
	v_lshrrev_b32_e32 v42, 16, v15
	v_lshrrev_b32_e32 v41, 16, v16
.LBB0_9:
	s_or_b64 exec, exec, s[4:5]
	v_lshlrev_b64 v[9:10], 2, v[9:10]
	global_load_dword v32, v20, s[14:15] offset:264
	global_load_dword v33, v20, s[14:15] offset:352
	;; [unrolled: 1-line block ×3, first 2 shown]
	v_mov_b32_e32 v29, s15
	v_add_co_u32_e32 v9, vcc, s14, v9
	v_addc_co_u32_e32 v10, vcc, v29, v10, vcc
	global_load_dword v30, v[9:10], off offset:264
	s_waitcnt lgkmcnt(1)
	v_lshrrev_b32_e32 v9, 16, v14
	s_waitcnt lgkmcnt(0)
	v_lshrrev_b32_e32 v10, 16, v11
	v_lshrrev_b32_e32 v37, 16, v12
	;; [unrolled: 1-line block ×5, first 2 shown]
	v_lshl_add_u32 v29, v19, 2, v22
	v_add_u32_e32 v35, v20, v22
	s_waitcnt vmcnt(3)
	v_mul_f16_sdwa v38, v9, v32 dst_sel:DWORD dst_unused:UNUSED_PAD src0_sel:DWORD src1_sel:WORD_1
	v_mul_f16_sdwa v39, v14, v32 dst_sel:DWORD dst_unused:UNUSED_PAD src0_sel:DWORD src1_sel:WORD_1
	s_waitcnt vmcnt(2)
	v_mul_f16_sdwa v44, v10, v33 dst_sel:DWORD dst_unused:UNUSED_PAD src0_sel:DWORD src1_sel:WORD_1
	s_waitcnt vmcnt(1)
	v_mul_f16_sdwa v46, v37, v34 dst_sel:DWORD dst_unused:UNUSED_PAD src0_sel:DWORD src1_sel:WORD_1
	v_mul_f16_sdwa v47, v12, v34 dst_sel:DWORD dst_unused:UNUSED_PAD src0_sel:DWORD src1_sel:WORD_1
	;; [unrolled: 1-line block ×3, first 2 shown]
	v_fma_f16 v14, v14, v32, -v38
	v_fma_f16 v9, v9, v32, v39
	v_fma_f16 v11, v11, v33, -v44
	v_fma_f16 v39, v12, v34, -v46
	v_fma_f16 v44, v37, v34, v47
	v_fma_f16 v38, v10, v33, v45
	v_sub_f16_e32 v10, v17, v14
	v_sub_f16_e32 v14, v13, v39
	;; [unrolled: 1-line block ×3, first 2 shown]
	s_waitcnt vmcnt(0)
	v_mul_f16_sdwa v44, v41, v30 dst_sel:DWORD dst_unused:UNUSED_PAD src0_sel:DWORD src1_sel:WORD_1
	v_mul_f16_sdwa v45, v16, v30 dst_sel:DWORD dst_unused:UNUSED_PAD src0_sel:DWORD src1_sel:WORD_1
	v_sub_f16_e32 v37, v36, v9
	v_sub_f16_e32 v12, v18, v11
	;; [unrolled: 1-line block ×3, first 2 shown]
	v_fma_f16 v16, v16, v30, -v44
	v_fma_f16 v41, v41, v30, v45
	v_fma_f16 v9, v17, 2.0, -v10
	v_fma_f16 v36, v36, 2.0, -v37
	;; [unrolled: 1-line block ×4, first 2 shown]
	v_sub_f16_e32 v16, v15, v16
	v_sub_f16_e32 v41, v42, v41
	v_fma_f16 v13, v13, 2.0, -v14
	v_fma_f16 v40, v43, 2.0, -v39
	v_pack_b32_f16 v43, v12, v38
	v_pack_b32_f16 v46, v14, v39
	;; [unrolled: 1-line block ×4, first 2 shown]
	v_fma_f16 v15, v15, 2.0, -v16
	v_fma_f16 v42, v42, 2.0, -v41
	v_pack_b32_f16 v17, v10, v37
	ds_write_b32 v29, v43 offset:396
	v_pack_b32_f16 v43, v13, v40
	ds_write2_b32 v29, v44, v45 offset1:22
	ds_write2_b32 v29, v43, v17 offset0:44 offset1:77
	ds_write_b32 v35, v46 offset:484
	s_and_saveexec_b64 s[4:5], s[2:3]
	s_cbranch_execz .LBB0_11
; %bb.10:
	s_mov_b32 s14, 0x5040100
	v_perm_b32 v17, v42, v15, s14
	v_perm_b32 v43, v41, v16, s14
	ds_write2_b32 v29, v17, v43 offset0:66 offset1:143
.LBB0_11:
	s_or_b64 exec, exec, s[4:5]
	s_waitcnt lgkmcnt(0)
	s_barrier
	s_and_saveexec_b64 s[4:5], s[0:1]
	s_cbranch_execz .LBB0_13
; %bb.12:
	global_load_dword v45, v20, s[6:7] offset:616
	s_add_u32 s14, s6, 0x268
	s_addc_u32 s15, s7, 0
	global_load_dword v47, v20, s[14:15] offset:56
	ds_read2_b32 v[43:44], v29 offset1:14
	s_waitcnt lgkmcnt(0)
	v_lshrrev_b32_e32 v17, 16, v43
	s_waitcnt vmcnt(1)
	v_mul_f16_sdwa v46, v17, v45 dst_sel:DWORD dst_unused:UNUSED_PAD src0_sel:DWORD src1_sel:WORD_1
	v_fma_f16 v46, v43, v45, -v46
	v_mul_f16_sdwa v43, v43, v45 dst_sel:DWORD dst_unused:UNUSED_PAD src0_sel:DWORD src1_sel:WORD_1
	v_fma_f16 v17, v17, v45, v43
	v_lshrrev_b32_e32 v43, 16, v44
	s_waitcnt vmcnt(0)
	v_mul_f16_sdwa v48, v43, v47 dst_sel:DWORD dst_unused:UNUSED_PAD src0_sel:DWORD src1_sel:WORD_1
	v_fma_f16 v48, v44, v47, -v48
	v_mul_f16_sdwa v44, v44, v47 dst_sel:DWORD dst_unused:UNUSED_PAD src0_sel:DWORD src1_sel:WORD_1
	v_fma_f16 v43, v43, v47, v44
	v_pack_b32_f16 v17, v46, v17
	v_pack_b32_f16 v43, v48, v43
	ds_write2_b32 v29, v17, v43 offset1:14
	global_load_dword v43, v20, s[14:15] offset:112
	ds_read2_b32 v[45:46], v29 offset0:28 offset1:42
	s_waitcnt lgkmcnt(0)
	v_lshrrev_b32_e32 v17, 16, v45
	s_waitcnt vmcnt(0)
	v_mul_f16_sdwa v44, v17, v43 dst_sel:DWORD dst_unused:UNUSED_PAD src0_sel:DWORD src1_sel:WORD_1
	v_fma_f16 v44, v45, v43, -v44
	v_mul_f16_sdwa v45, v45, v43 dst_sel:DWORD dst_unused:UNUSED_PAD src0_sel:DWORD src1_sel:WORD_1
	v_fma_f16 v17, v17, v43, v45
	v_pack_b32_f16 v17, v44, v17
	global_load_dword v44, v20, s[14:15] offset:168
	v_lshrrev_b32_e32 v43, 16, v46
	s_waitcnt vmcnt(0)
	v_mul_f16_sdwa v45, v43, v44 dst_sel:DWORD dst_unused:UNUSED_PAD src0_sel:DWORD src1_sel:WORD_1
	v_fma_f16 v45, v46, v44, -v45
	v_mul_f16_sdwa v46, v46, v44 dst_sel:DWORD dst_unused:UNUSED_PAD src0_sel:DWORD src1_sel:WORD_1
	v_fma_f16 v43, v43, v44, v46
	v_pack_b32_f16 v43, v45, v43
	global_load_dword v45, v20, s[14:15] offset:224
	ds_write2_b32 v29, v17, v43 offset0:28 offset1:42
	ds_read2_b32 v[43:44], v29 offset0:56 offset1:70
	s_waitcnt lgkmcnt(0)
	v_lshrrev_b32_e32 v17, 16, v43
	s_waitcnt vmcnt(0)
	v_mul_f16_sdwa v46, v17, v45 dst_sel:DWORD dst_unused:UNUSED_PAD src0_sel:DWORD src1_sel:WORD_1
	v_fma_f16 v46, v43, v45, -v46
	v_mul_f16_sdwa v43, v43, v45 dst_sel:DWORD dst_unused:UNUSED_PAD src0_sel:DWORD src1_sel:WORD_1
	v_fma_f16 v17, v17, v45, v43
	global_load_dword v45, v20, s[14:15] offset:280
	v_lshrrev_b32_e32 v43, 16, v44
	v_pack_b32_f16 v17, v46, v17
	s_waitcnt vmcnt(0)
	v_mul_f16_sdwa v46, v43, v45 dst_sel:DWORD dst_unused:UNUSED_PAD src0_sel:DWORD src1_sel:WORD_1
	v_fma_f16 v46, v44, v45, -v46
	v_mul_f16_sdwa v44, v44, v45 dst_sel:DWORD dst_unused:UNUSED_PAD src0_sel:DWORD src1_sel:WORD_1
	v_fma_f16 v43, v43, v45, v44
	global_load_dword v45, v20, s[14:15] offset:336
	v_pack_b32_f16 v43, v46, v43
	ds_write2_b32 v29, v17, v43 offset0:56 offset1:70
	ds_read2_b32 v[43:44], v29 offset0:84 offset1:98
	s_waitcnt lgkmcnt(0)
	v_lshrrev_b32_e32 v17, 16, v43
	s_waitcnt vmcnt(0)
	v_mul_f16_sdwa v46, v17, v45 dst_sel:DWORD dst_unused:UNUSED_PAD src0_sel:DWORD src1_sel:WORD_1
	v_fma_f16 v46, v43, v45, -v46
	v_mul_f16_sdwa v43, v43, v45 dst_sel:DWORD dst_unused:UNUSED_PAD src0_sel:DWORD src1_sel:WORD_1
	v_fma_f16 v17, v17, v45, v43
	global_load_dword v45, v20, s[14:15] offset:392
	v_lshrrev_b32_e32 v43, 16, v44
	v_pack_b32_f16 v17, v46, v17
	s_waitcnt vmcnt(0)
	v_mul_f16_sdwa v46, v43, v45 dst_sel:DWORD dst_unused:UNUSED_PAD src0_sel:DWORD src1_sel:WORD_1
	v_fma_f16 v46, v44, v45, -v46
	v_mul_f16_sdwa v44, v44, v45 dst_sel:DWORD dst_unused:UNUSED_PAD src0_sel:DWORD src1_sel:WORD_1
	v_fma_f16 v43, v43, v45, v44
	global_load_dword v45, v20, s[14:15] offset:448
	v_pack_b32_f16 v43, v46, v43
	;; [unrolled: 19-line block ×3, first 2 shown]
	ds_write2_b32 v29, v17, v43 offset0:112 offset1:126
	ds_read_b32 v17, v29 offset:560
	s_waitcnt lgkmcnt(0)
	v_lshrrev_b32_e32 v43, 16, v17
	s_waitcnt vmcnt(0)
	v_mul_f16_sdwa v45, v43, v44 dst_sel:DWORD dst_unused:UNUSED_PAD src0_sel:DWORD src1_sel:WORD_1
	v_fma_f16 v45, v17, v44, -v45
	v_mul_f16_sdwa v17, v17, v44 dst_sel:DWORD dst_unused:UNUSED_PAD src0_sel:DWORD src1_sel:WORD_1
	v_fma_f16 v17, v43, v44, v17
	v_pack_b32_f16 v17, v45, v17
	ds_write_b32 v29, v17 offset:560
.LBB0_13:
	s_or_b64 exec, exec, s[4:5]
	s_waitcnt lgkmcnt(0)
	s_barrier
	s_and_saveexec_b64 s[4:5], s[0:1]
	s_cbranch_execz .LBB0_15
; %bb.14:
	ds_read2_b32 v[9:10], v29 offset1:14
	ds_read2_b32 v[11:12], v29 offset0:28 offset1:42
	ds_read2_b32 v[13:14], v29 offset0:56 offset1:70
	ds_read2_b32 v[15:16], v29 offset0:84 offset1:98
	ds_read2_b32 v[5:6], v29 offset0:112 offset1:126
	ds_read_b32 v24, v29 offset:560
	s_waitcnt lgkmcnt(5)
	v_lshrrev_b32_e32 v36, 16, v9
	v_lshrrev_b32_e32 v37, 16, v10
	s_waitcnt lgkmcnt(4)
	v_lshrrev_b32_e32 v18, 16, v11
	v_lshrrev_b32_e32 v38, 16, v12
	;; [unrolled: 3-line block ×5, first 2 shown]
	s_waitcnt lgkmcnt(0)
	v_lshrrev_b32_e32 v28, 16, v24
.LBB0_15:
	s_or_b64 exec, exec, s[4:5]
	v_sub_f16_e32 v54, v37, v28
	v_add_f16_e32 v44, v24, v10
	v_add_f16_e32 v56, v28, v37
	s_mov_b32 s14, 0xb93d
	v_mul_f16_e32 v64, 0xba0c, v54
	v_sub_f16_e32 v55, v18, v26
	v_sub_f16_e32 v46, v10, v24
	s_mov_b32 s15, 0xba0c
	v_mul_f16_e32 v66, 0xb93d, v56
	v_fma_f16 v17, v44, s14, -v64
	v_add_f16_e32 v45, v6, v11
	v_add_f16_e32 v58, v26, v18
	s_mov_b32 s16, 0xb08e
	v_mul_f16_e32 v65, 0x3beb, v55
	v_add_f16_e32 v17, v9, v17
	v_fma_f16 v43, v46, s15, v66
	v_sub_f16_e32 v48, v11, v6
	s_movk_i32 s20, 0x3beb
	v_mul_f16_e32 v68, 0xb08e, v58
	v_fma_f16 v47, v45, s16, -v65
	v_add_f16_e32 v43, v36, v43
	v_add_f16_e32 v17, v47, v17
	v_fma_f16 v47, v48, s20, v68
	v_sub_f16_e32 v57, v38, v27
	v_add_f16_e32 v43, v47, v43
	v_add_f16_e32 v47, v5, v12
	v_add_f16_e32 v60, v27, v38
	s_movk_i32 s17, 0x3abb
	v_mul_f16_e32 v67, 0xb853, v57
	v_sub_f16_e32 v50, v12, v5
	s_mov_b32 s19, 0xb853
	v_mul_f16_e32 v70, 0x3abb, v60
	v_fma_f16 v49, v47, s17, -v67
	v_add_f16_e32 v17, v49, v17
	v_fma_f16 v49, v50, s19, v70
	v_sub_f16_e32 v59, v40, v41
	v_add_f16_e32 v43, v49, v43
	v_add_f16_e32 v49, v16, v13
	;; [unrolled: 1-line block ×3, first 2 shown]
	s_mov_b32 s18, 0xbbad
	v_mul_f16_e32 v69, 0xb482, v59
	v_sub_f16_e32 v52, v13, v16
	s_mov_b32 s21, 0xb482
	v_mul_f16_e32 v72, 0xbbad, v62
	v_fma_f16 v51, v49, s18, -v69
	v_add_f16_e32 v17, v51, v17
	v_fma_f16 v51, v52, s21, v72
	v_sub_f16_e32 v61, v39, v42
	v_add_f16_e32 v43, v51, v43
	v_add_f16_e32 v51, v15, v14
	;; [unrolled: 1-line block ×3, first 2 shown]
	s_movk_i32 s22, 0x36a6
	v_mul_f16_e32 v71, 0x3b47, v61
	v_sub_f16_e32 v53, v14, v15
	s_movk_i32 s23, 0x3b47
	v_mul_f16_e32 v73, 0x36a6, v63
	v_fma_f16 v74, v51, s22, -v71
	v_add_f16_e32 v17, v74, v17
	v_fma_f16 v74, v53, s23, v73
	v_add_f16_e32 v43, v74, v43
	s_barrier
	s_and_saveexec_b64 s[4:5], s[0:1]
	s_cbranch_execz .LBB0_17
; %bb.16:
	v_mul_f16_e32 v77, 0xb482, v46
	v_fma_f16 v78, v56, s18, v77
	v_mul_f16_e32 v79, 0x3853, v48
	v_add_f16_e32 v78, v36, v78
	v_fma_f16 v80, v58, s17, v79
	v_add_f16_e32 v78, v80, v78
	v_mul_f16_e32 v80, 0xba0c, v50
	v_fma_f16 v81, v60, s14, v80
	v_add_f16_e32 v78, v81, v78
	v_mul_f16_e32 v81, 0x3b47, v52
	;; [unrolled: 3-line block ×4, first 2 shown]
	v_fma_f16 v84, v44, s18, -v83
	v_mul_f16_e32 v85, 0x3853, v55
	v_add_f16_e32 v84, v9, v84
	v_fma_f16 v86, v45, s17, -v85
	v_add_f16_e32 v84, v86, v84
	v_mul_f16_e32 v86, 0xba0c, v57
	v_fma_f16 v87, v47, s14, -v86
	v_add_f16_e32 v84, v87, v84
	v_mul_f16_e32 v87, 0x3b47, v59
	v_fma_f16 v88, v49, s22, -v87
	v_fma_f16 v77, v56, s18, -v77
	v_mul_f16_e32 v74, 0xb93d, v44
	v_add_f16_e32 v84, v88, v84
	v_mul_f16_e32 v88, 0xbbeb, v61
	v_add_f16_e32 v77, v36, v77
	v_fma_f16 v79, v58, s17, -v79
	v_mul_f16_e32 v75, 0xba0c, v46
	v_mul_f16_e32 v76, 0xb08e, v45
	v_fma_f16 v89, v51, s16, -v88
	v_add_f16_e32 v77, v79, v77
	v_fma_f16 v80, v60, s14, -v80
	v_add_f16_e32 v64, v74, v64
	v_add_f16_e32 v84, v89, v84
	v_mul_f16_e32 v89, 0x3beb, v48
	v_mul_f16_e32 v79, 0x3abb, v47
	v_add_f16_e32 v77, v80, v77
	v_fma_f16 v81, v62, s22, -v81
	v_fma_f16 v83, v44, s18, v83
	v_sub_f16_e32 v66, v66, v75
	v_add_f16_e32 v64, v9, v64
	v_add_f16_e32 v65, v76, v65
	v_mul_f16_e32 v80, 0xb853, v50
	v_add_f16_e32 v77, v81, v77
	v_mul_f16_e32 v81, 0xbbad, v49
	v_fma_f16 v82, v63, s16, -v82
	v_add_f16_e32 v83, v9, v83
	v_fma_f16 v85, v45, s17, v85
	v_add_f16_e32 v66, v36, v66
	v_sub_f16_e32 v68, v68, v89
	v_add_f16_e32 v64, v65, v64
	v_add_f16_e32 v65, v79, v67
	;; [unrolled: 1-line block ×3, first 2 shown]
	v_mul_f16_e32 v82, 0xb482, v52
	v_add_f16_e32 v83, v85, v83
	v_mul_f16_e32 v85, 0x36a6, v51
	v_fma_f16 v86, v47, s14, v86
	v_add_f16_e32 v66, v68, v66
	v_sub_f16_e32 v68, v70, v80
	v_add_f16_e32 v64, v65, v64
	v_add_f16_e32 v65, v81, v69
	;; [unrolled: 1-line block ×3, first 2 shown]
	v_mul_f16_e32 v86, 0x3b47, v53
	v_add_f16_e32 v66, v68, v66
	v_sub_f16_e32 v68, v72, v82
	v_add_f16_e32 v64, v65, v64
	v_add_f16_e32 v65, v85, v71
	;; [unrolled: 1-line block ×3, first 2 shown]
	v_sub_f16_e32 v68, v73, v86
	v_add_f16_e32 v64, v65, v64
	v_mul_f16_e32 v65, 0xb08e, v56
	v_add_f16_e32 v66, v68, v66
	v_fma_f16 v67, v46, s20, v65
	v_mul_f16_e32 v68, 0xbbad, v58
	v_add_f16_e32 v67, v36, v67
	v_fma_f16 v69, v48, s21, v68
	v_add_f16_e32 v67, v69, v67
	v_mul_f16_e32 v69, 0x36a6, v60
	s_mov_b32 s26, 0xbb47
	v_fma_f16 v70, v50, s26, v69
	s_movk_i32 s25, 0x3853
	v_add_f16_e32 v67, v70, v67
	v_mul_f16_e32 v70, 0x3abb, v62
	v_fma_f16 v71, v52, s25, v70
	v_add_f16_e32 v67, v71, v67
	v_mul_f16_e32 v71, 0xb93d, v63
	s_movk_i32 s27, 0x3a0c
	v_fma_f16 v72, v53, s27, v71
	v_add_f16_e32 v67, v72, v67
	v_mul_f16_e32 v72, 0xbbeb, v54
	v_fma_f16 v73, v44, s16, v72
	v_mul_f16_e32 v74, 0x3482, v55
	v_add_f16_e32 v73, v9, v73
	v_fma_f16 v75, v45, s18, v74
	v_add_f16_e32 v73, v75, v73
	v_mul_f16_e32 v75, 0x3b47, v57
	v_fma_f16 v76, v47, s22, v75
	v_add_f16_e32 v73, v76, v73
	v_mul_f16_e32 v76, 0xb853, v59
	;; [unrolled: 3-line block ×4, first 2 shown]
	v_fma_f16 v81, v46, s23, v80
	v_mul_f16_e32 v82, 0xb93d, v58
	v_add_f16_e32 v81, v36, v81
	v_fma_f16 v85, v48, s27, v82
	v_add_f16_e32 v81, v85, v81
	v_mul_f16_e32 v85, 0xbbad, v60
	v_fma_f16 v87, v49, s22, v87
	v_fma_f16 v86, v50, s21, v85
	v_add_f16_e32 v10, v10, v9
	s_mov_b32 s24, 0xbbeb
	v_add_f16_e32 v83, v87, v83
	v_fma_f16 v87, v51, s16, v88
	v_add_f16_e32 v81, v86, v81
	v_mul_f16_e32 v86, 0xb08e, v62
	v_add_f16_e32 v10, v11, v10
	v_add_f16_e32 v83, v87, v83
	v_fma_f16 v87, v52, s24, v86
	v_add_f16_e32 v10, v12, v10
	v_add_f16_e32 v81, v87, v81
	v_mul_f16_e32 v87, 0x3abb, v63
	v_add_f16_e32 v10, v13, v10
	v_fma_f16 v88, v53, s19, v87
	v_add_f16_e32 v10, v14, v10
	v_add_f16_e32 v81, v88, v81
	v_mul_f16_e32 v88, 0xbb47, v54
	v_add_f16_e32 v10, v15, v10
	v_fma_f16 v11, v44, s22, v88
	v_mul_f16_e32 v12, 0xba0c, v55
	v_add_f16_e32 v10, v16, v10
	v_add_f16_e32 v11, v9, v11
	v_fma_f16 v89, v45, s14, v12
	v_mul_f16_e32 v13, 0x3482, v57
	v_add_f16_e32 v5, v5, v10
	v_add_f16_e32 v11, v89, v11
	v_fma_f16 v14, v47, s18, v13
	v_add_f16_e32 v5, v6, v5
	v_add_f16_e32 v11, v14, v11
	v_mul_f16_e32 v14, 0x3beb, v59
	v_add_f16_e32 v5, v24, v5
	v_add_f16_e32 v24, v37, v36
	v_fma_f16 v89, v49, s16, v14
	v_mul_f16_e32 v15, 0x3853, v61
	v_add_f16_e32 v18, v18, v24
	v_add_f16_e32 v11, v89, v11
	v_fma_f16 v16, v51, s17, v15
	v_add_f16_e32 v18, v38, v18
	v_add_f16_e32 v11, v16, v11
	v_mul_f16_e32 v16, 0x3abb, v56
	v_add_f16_e32 v18, v40, v18
	v_fma_f16 v56, v46, s25, v16
	v_mul_f16_e32 v58, 0x36a6, v58
	v_add_f16_e32 v18, v39, v18
	v_add_f16_e32 v56, v36, v56
	v_fma_f16 v89, v48, s23, v58
	v_mul_f16_e32 v60, 0xb08e, v60
	v_add_f16_e32 v18, v42, v18
	;; [unrolled: 4-line block ×3, first 2 shown]
	v_add_f16_e32 v56, v89, v56
	v_fma_f16 v89, v52, s27, v62
	s_movk_i32 s27, 0x3482
	v_add_f16_e32 v18, v27, v18
	v_fma_f16 v24, v46, s24, v65
	v_add_f16_e32 v18, v26, v18
	v_add_f16_e32 v24, v36, v24
	v_fma_f16 v26, v48, s27, v68
	v_add_f16_e32 v24, v26, v24
	v_fma_f16 v26, v50, s23, v69
	;; [unrolled: 2-line block ×4, first 2 shown]
	v_add_f16_e32 v24, v26, v24
	v_fma_f16 v26, v44, s16, -v72
	v_add_f16_e32 v26, v9, v26
	v_fma_f16 v27, v45, s18, -v74
	;; [unrolled: 2-line block ×5, first 2 shown]
	v_add_f16_e32 v26, v27, v26
	v_fma_f16 v27, v46, s26, v80
	v_add_f16_e32 v18, v28, v18
	v_add_f16_e32 v27, v36, v27
	v_fma_f16 v28, v48, s15, v82
	v_add_f16_e32 v27, v28, v27
	v_fma_f16 v28, v50, s27, v85
	;; [unrolled: 2-line block ×4, first 2 shown]
	v_add_f16_e32 v27, v28, v27
	v_fma_f16 v28, v44, s22, -v88
	v_add_f16_e32 v28, v9, v28
	v_fma_f16 v12, v45, s14, -v12
	v_add_f16_e32 v12, v12, v28
	v_fma_f16 v13, v47, s18, -v13
	v_add_f16_e32 v12, v13, v12
	v_fma_f16 v13, v49, s16, -v14
	v_add_f16_e32 v12, v13, v12
	v_fma_f16 v13, v51, s17, -v15
	v_mul_f16_e32 v54, 0xb853, v54
	v_add_f16_e32 v12, v13, v12
	v_fma_f16 v13, v46, s19, v16
	v_fma_f16 v6, v44, s17, v54
	v_mul_f16_e32 v10, 0xbb47, v55
	v_add_f16_e32 v13, v36, v13
	v_fma_f16 v14, v48, s26, v58
	v_add_f16_e32 v6, v9, v6
	v_fma_f16 v55, v45, s22, v10
	;; [unrolled: 2-line block ×3, first 2 shown]
	v_mul_f16_e32 v63, 0xbbad, v63
	v_add_f16_e32 v6, v55, v6
	v_mul_f16_e32 v55, 0xbbeb, v57
	v_add_f16_e32 v13, v14, v13
	v_fma_f16 v14, v52, s15, v62
	v_fma_f16 v57, v47, s16, v55
	v_add_f16_e32 v13, v14, v13
	v_fma_f16 v14, v53, s21, v63
	v_add_f16_e32 v6, v57, v6
	v_mul_f16_e32 v57, 0xba0c, v59
	v_add_f16_e32 v13, v14, v13
	v_fma_f16 v14, v44, s17, -v54
	v_fma_f16 v59, v49, s14, v57
	v_add_f16_e32 v9, v9, v14
	v_fma_f16 v10, v45, s22, -v10
	v_add_f16_e32 v6, v59, v6
	v_mul_f16_e32 v59, 0xb482, v61
	v_add_f16_e32 v9, v10, v9
	v_fma_f16 v10, v47, s16, -v55
	v_add_f16_e32 v56, v89, v56
	v_fma_f16 v89, v53, s27, v63
	v_fma_f16 v61, v51, s18, v59
	v_add_f16_e32 v9, v10, v9
	v_fma_f16 v10, v49, s14, -v57
	v_add_f16_e32 v56, v89, v56
	v_add_f16_e32 v6, v61, v6
	;; [unrolled: 1-line block ×3, first 2 shown]
	v_fma_f16 v10, v51, s18, -v59
	v_add_f16_e32 v9, v10, v9
	v_lshl_add_u32 v10, v23, 2, v22
	v_pack_b32_f16 v6, v6, v56
	v_pack_b32_f16 v5, v5, v18
	ds_write2_b32 v10, v5, v6 offset1:1
	v_pack_b32_f16 v5, v73, v67
	v_pack_b32_f16 v6, v11, v81
	ds_write2_b32 v10, v6, v5 offset0:2 offset1:3
	v_pack_b32_f16 v5, v64, v66
	v_pack_b32_f16 v6, v83, v77
	s_mov_b32 s14, 0x5040100
	ds_write2_b32 v10, v5, v6 offset0:4 offset1:5
	v_pack_b32_f16 v5, v84, v78
	v_perm_b32 v6, v43, v17, s14
	ds_write2_b32 v10, v5, v6 offset0:6 offset1:7
	v_pack_b32_f16 v5, v12, v27
	v_pack_b32_f16 v6, v26, v24
	ds_write2_b32 v10, v6, v5 offset0:8 offset1:9
	v_pack_b32_f16 v5, v9, v13
	ds_write_b32 v10, v5 offset:40
.LBB0_17:
	s_or_b64 exec, exec, s[4:5]
	s_waitcnt lgkmcnt(0)
	s_barrier
	ds_read2_b32 v[5:6], v25 offset1:22
	ds_read2_b32 v[9:10], v25 offset0:44 offset1:66
	ds_read2_b32 v[11:12], v25 offset0:88 offset1:110
	ds_read_b32 v14, v25 offset:528
	s_movk_i32 s4, 0x2b26
	s_waitcnt lgkmcnt(3)
	v_lshrrev_b32_e32 v13, 16, v6
	v_mul_f16_sdwa v24, v0, v13 dst_sel:DWORD dst_unused:UNUSED_PAD src0_sel:WORD_1 src1_sel:DWORD
	s_waitcnt lgkmcnt(2)
	v_lshrrev_b32_e32 v15, 16, v9
	v_fma_f16 v24, v0, v6, v24
	v_mul_f16_sdwa v6, v0, v6 dst_sel:DWORD dst_unused:UNUSED_PAD src0_sel:WORD_1 src1_sel:DWORD
	v_fma_f16 v0, v0, v13, -v6
	v_mul_f16_sdwa v6, v1, v15 dst_sel:DWORD dst_unused:UNUSED_PAD src0_sel:WORD_1 src1_sel:DWORD
	v_lshrrev_b32_e32 v16, 16, v10
	v_fma_f16 v6, v1, v9, v6
	v_mul_f16_sdwa v9, v1, v9 dst_sel:DWORD dst_unused:UNUSED_PAD src0_sel:WORD_1 src1_sel:DWORD
	v_fma_f16 v1, v1, v15, -v9
	v_mul_f16_sdwa v9, v2, v16 dst_sel:DWORD dst_unused:UNUSED_PAD src0_sel:WORD_1 src1_sel:DWORD
	s_waitcnt lgkmcnt(1)
	v_lshrrev_b32_e32 v18, 16, v11
	v_fma_f16 v9, v2, v10, v9
	v_mul_f16_sdwa v10, v2, v10 dst_sel:DWORD dst_unused:UNUSED_PAD src0_sel:WORD_1 src1_sel:DWORD
	v_fma_f16 v2, v2, v16, -v10
	v_mul_f16_sdwa v10, v3, v18 dst_sel:DWORD dst_unused:UNUSED_PAD src0_sel:WORD_1 src1_sel:DWORD
	v_lshrrev_b32_e32 v22, 16, v12
	v_fma_f16 v10, v3, v11, v10
	v_mul_f16_sdwa v11, v3, v11 dst_sel:DWORD dst_unused:UNUSED_PAD src0_sel:WORD_1 src1_sel:DWORD
	v_fma_f16 v3, v3, v18, -v11
	v_mul_f16_sdwa v11, v7, v22 dst_sel:DWORD dst_unused:UNUSED_PAD src0_sel:WORD_1 src1_sel:DWORD
	s_waitcnt lgkmcnt(0)
	v_lshrrev_b32_e32 v23, 16, v14
	v_fma_f16 v11, v7, v12, v11
	v_mul_f16_sdwa v12, v7, v12 dst_sel:DWORD dst_unused:UNUSED_PAD src0_sel:WORD_1 src1_sel:DWORD
	v_fma_f16 v7, v7, v22, -v12
	v_mul_f16_sdwa v12, v8, v23 dst_sel:DWORD dst_unused:UNUSED_PAD src0_sel:WORD_1 src1_sel:DWORD
	v_mul_f16_sdwa v13, v8, v14 dst_sel:DWORD dst_unused:UNUSED_PAD src0_sel:WORD_1 src1_sel:DWORD
	v_fma_f16 v12, v8, v14, v12
	v_fma_f16 v8, v8, v23, -v13
	v_add_f16_e32 v13, v24, v12
	v_add_f16_e32 v14, v0, v8
	v_sub_f16_e32 v0, v0, v8
	v_add_f16_e32 v8, v6, v11
	v_add_f16_e32 v15, v1, v7
	v_sub_f16_e32 v6, v6, v11
	v_sub_f16_e32 v1, v1, v7
	v_add_f16_e32 v7, v9, v10
	v_add_f16_e32 v11, v2, v3
	v_sub_f16_e32 v9, v10, v9
	v_sub_f16_e32 v12, v24, v12
	;; [unrolled: 1-line block ×3, first 2 shown]
	v_add_f16_e32 v3, v8, v13
	v_add_f16_e32 v10, v15, v14
	v_sub_f16_e32 v16, v8, v13
	v_sub_f16_e32 v18, v15, v14
	;; [unrolled: 1-line block ×4, first 2 shown]
	v_add_f16_e32 v22, v9, v6
	v_sub_f16_e32 v8, v7, v8
	v_sub_f16_e32 v15, v11, v15
	;; [unrolled: 1-line block ×5, first 2 shown]
	v_add_f16_e32 v3, v7, v3
	v_add_f16_e32 v7, v11, v10
	;; [unrolled: 1-line block ×3, first 2 shown]
	v_mul_f16_e32 v12, 0x3a52, v13
	v_mul_f16_e32 v13, 0x3a52, v14
	v_mul_f16_e32 v14, 0x2b26, v8
	v_mul_f16_e32 v22, 0x2b26, v15
	v_fma_f16 v8, v8, s4, v12
	v_fma_f16 v15, v15, s4, v13
	s_movk_i32 s4, 0x39e0
	v_add_f16_e32 v23, v2, v1
	v_sub_f16_e32 v26, v2, v1
	v_fma_f16 v14, v16, s4, -v14
	v_fma_f16 v22, v18, s4, -v22
	s_mov_b32 s4, 0xb9e0
	v_sub_f16_e32 v2, v0, v2
	v_sub_f16_e32 v1, v1, v0
	v_add_f16_e32 v0, v23, v0
	v_mul_f16_e32 v23, 0x3846, v24
	v_mul_f16_e32 v24, 0x3846, v26
	v_fma_f16 v12, v16, s4, -v12
	v_fma_f16 v13, v18, s4, -v13
	s_mov_b32 s4, 0xb574
	v_add_f16_e32 v11, v5, v3
	v_add_f16_sdwa v5, v5, v7 dst_sel:DWORD dst_unused:UNUSED_PAD src0_sel:WORD_1 src1_sel:DWORD
	s_mov_b32 s5, 0xbb00
	v_mul_f16_e32 v26, 0xbb00, v6
	v_mul_f16_e32 v27, 0xbb00, v1
	s_mov_b32 s14, 0xbcab
	v_fma_f16 v16, v9, s4, v23
	v_fma_f16 v18, v2, s4, v24
	s_movk_i32 s4, 0x3574
	v_fma_f16 v3, v3, s14, v11
	v_fma_f16 v7, v7, s14, v5
	v_fma_f16 v6, v6, s5, -v23
	v_fma_f16 v1, v1, s5, -v24
	v_fma_f16 v9, v9, s4, -v26
	v_fma_f16 v2, v2, s4, -v27
	s_mov_b32 s4, 0xb70e
	v_add_f16_e32 v8, v8, v3
	v_add_f16_e32 v15, v15, v7
	;; [unrolled: 1-line block ×6, first 2 shown]
	v_fma_f16 v12, v10, s4, v16
	v_fma_f16 v13, v0, s4, v18
	;; [unrolled: 1-line block ×6, first 2 shown]
	v_add_f16_e32 v2, v13, v8
	v_sub_f16_e32 v10, v15, v12
	v_add_f16_e32 v18, v0, v3
	v_sub_f16_e32 v24, v14, v1
	v_add_f16_e32 v26, v6, v22
	v_add_f16_e32 v1, v1, v14
	v_sub_f16_e32 v6, v22, v6
	v_sub_f16_e32 v0, v3, v0
	v_add_f16_e32 v3, v9, v7
	v_sub_f16_e32 v23, v7, v9
	v_sub_f16_e32 v16, v8, v13
	v_add_f16_e32 v7, v12, v15
	v_pack_b32_f16 v5, v11, v5
	v_pack_b32_f16 v2, v2, v10
	;; [unrolled: 1-line block ×4, first 2 shown]
	s_barrier
	ds_write2_b32 v31, v5, v2 offset1:11
	v_pack_b32_f16 v2, v18, v23
	v_pack_b32_f16 v5, v24, v26
	ds_write2_b32 v31, v1, v0 offset0:44 offset1:55
	v_pack_b32_f16 v0, v16, v7
	ds_write2_b32 v31, v2, v5 offset0:22 offset1:33
	ds_write_b32 v31, v0 offset:264
	s_waitcnt lgkmcnt(0)
	s_barrier
	ds_read2_b32 v[2:3], v25 offset1:22
	ds_read2_b32 v[0:1], v25 offset0:44 offset1:77
	ds_read2_b32 v[5:6], v25 offset0:99 offset1:121
	v_add_u32_e32 v8, 0xb0, v35
	s_and_saveexec_b64 s[4:5], s[2:3]
	s_cbranch_execz .LBB0_19
; %bb.18:
	ds_read2_b32 v[16:17], v25 offset0:66 offset1:143
	s_waitcnt lgkmcnt(0)
	v_lshrrev_b32_e32 v7, 16, v16
	v_lshrrev_b32_e32 v43, 16, v17
.LBB0_19:
	s_or_b64 exec, exec, s[4:5]
	s_waitcnt lgkmcnt(1)
	v_lshrrev_b32_e32 v10, 16, v1
	v_mul_f16_sdwa v15, v32, v10 dst_sel:DWORD dst_unused:UNUSED_PAD src0_sel:WORD_1 src1_sel:DWORD
	s_waitcnt lgkmcnt(0)
	v_lshrrev_b32_e32 v12, 16, v5
	v_fma_f16 v15, v32, v1, v15
	v_mul_f16_sdwa v1, v32, v1 dst_sel:DWORD dst_unused:UNUSED_PAD src0_sel:WORD_1 src1_sel:DWORD
	v_fma_f16 v1, v32, v10, -v1
	v_mul_f16_sdwa v10, v33, v12 dst_sel:DWORD dst_unused:UNUSED_PAD src0_sel:WORD_1 src1_sel:DWORD
	v_lshrrev_b32_e32 v14, 16, v6
	v_fma_f16 v10, v33, v5, v10
	v_mul_f16_sdwa v5, v33, v5 dst_sel:DWORD dst_unused:UNUSED_PAD src0_sel:WORD_1 src1_sel:DWORD
	v_fma_f16 v5, v33, v12, -v5
	v_mul_f16_sdwa v12, v34, v14 dst_sel:DWORD dst_unused:UNUSED_PAD src0_sel:WORD_1 src1_sel:DWORD
	v_fma_f16 v12, v34, v6, v12
	v_mul_f16_sdwa v6, v34, v6 dst_sel:DWORD dst_unused:UNUSED_PAD src0_sel:WORD_1 src1_sel:DWORD
	v_lshrrev_b32_e32 v9, 16, v2
	v_lshrrev_b32_e32 v11, 16, v3
	;; [unrolled: 1-line block ×3, first 2 shown]
	v_fma_f16 v6, v34, v14, -v6
	v_sub_f16_e32 v14, v2, v15
	v_sub_f16_e32 v1, v9, v1
	;; [unrolled: 1-line block ×6, first 2 shown]
	v_fma_f16 v2, v2, 2.0, -v14
	v_fma_f16 v9, v9, 2.0, -v1
	;; [unrolled: 1-line block ×6, first 2 shown]
	v_pack_b32_f16 v2, v2, v9
	v_pack_b32_f16 v1, v14, v1
	;; [unrolled: 1-line block ×4, first 2 shown]
	ds_write2_b32 v29, v2, v3 offset1:22
	v_pack_b32_f16 v2, v10, v5
	ds_write2_b32 v29, v0, v1 offset0:44 offset1:77
	v_pack_b32_f16 v0, v12, v6
	ds_write_b32 v29, v2 offset:396
	ds_write_b32 v8, v0 offset:308
	s_and_saveexec_b64 s[4:5], s[2:3]
	s_cbranch_execz .LBB0_21
; %bb.20:
	v_mul_f16_sdwa v0, v30, v43 dst_sel:DWORD dst_unused:UNUSED_PAD src0_sel:WORD_1 src1_sel:DWORD
	v_mul_f16_sdwa v2, v30, v17 dst_sel:DWORD dst_unused:UNUSED_PAD src0_sel:WORD_1 src1_sel:DWORD
	v_fma_f16 v0, v30, v17, v0
	v_fma_f16 v2, v30, v43, -v2
	v_sub_f16_e32 v0, v16, v0
	v_sub_f16_e32 v2, v7, v2
	v_fma_f16 v1, v16, 2.0, -v0
	v_fma_f16 v3, v7, 2.0, -v2
	v_pack_b32_f16 v1, v1, v3
	v_pack_b32_f16 v0, v0, v2
	ds_write2_b32 v29, v1, v0 offset0:66 offset1:143
.LBB0_21:
	s_or_b64 exec, exec, s[4:5]
	s_waitcnt lgkmcnt(0)
	s_barrier
	s_and_b64 exec, exec, s[0:1]
	s_cbranch_execz .LBB0_23
; %bb.22:
	global_load_dword v9, v20, s[6:7]
	global_load_dword v8, v20, s[6:7] offset:56
	ds_read_b32 v15, v29
	v_mad_u64_u32 v[0:1], s[0:1], s10, v4, 0
	v_mad_u64_u32 v[2:3], s[0:1], s8, v19, 0
	v_lshl_add_u32 v6, v21, 2, v20
	s_mov_b32 s14, 0x606a63be
	v_mad_u64_u32 v[21:22], s[0:1], s11, v4, v[1:2]
	s_waitcnt lgkmcnt(0)
	v_lshrrev_b32_e32 v1, 16, v15
	s_mov_b32 s15, 0x3f7a98ef
	s_movk_i32 s18, 0x1ff
	global_load_dword v10, v20, s[6:7] offset:112
	global_load_dword v11, v20, s[6:7] offset:168
	;; [unrolled: 1-line block ×6, first 2 shown]
	s_movk_i32 s17, 0xffe
	ds_read2_b32 v[16:17], v6 offset0:14 offset1:28
	v_mov_b32_e32 v5, 0x7c00
	s_movk_i32 s16, 0x40f
	s_mov_b32 s10, 0x8000
	s_waitcnt vmcnt(7)
	v_mul_f16_sdwa v4, v1, v9 dst_sel:DWORD dst_unused:UNUSED_PAD src0_sel:DWORD src1_sel:WORD_1
	v_fma_f16 v4, v15, v9, v4
	v_mul_f16_sdwa v15, v15, v9 dst_sel:DWORD dst_unused:UNUSED_PAD src0_sel:DWORD src1_sel:WORD_1
	v_cvt_f32_f16_e32 v4, v4
	v_fma_f16 v1, v9, v1, -v15
	v_cvt_f32_f16_e32 v1, v1
	v_cvt_f64_f32_e32 v[22:23], v4
	v_mad_u64_u32 v[3:4], s[0:1], s9, v19, v[3:4]
	v_cvt_f64_f32_e32 v[24:25], v1
	v_mul_f64 v[22:23], v[22:23], s[14:15]
	v_mov_b32_e32 v1, v21
	s_waitcnt lgkmcnt(0)
	v_lshrrev_b32_e32 v4, 16, v16
	v_mul_f64 v[24:25], v[24:25], s[14:15]
	s_waitcnt vmcnt(6)
	v_mul_f16_sdwa v9, v4, v8 dst_sel:DWORD dst_unused:UNUSED_PAD src0_sel:DWORD src1_sel:WORD_1
	v_fma_f16 v9, v16, v8, v9
	v_cvt_f32_f16_e32 v9, v9
	v_lshlrev_b64 v[0:1], 2, v[0:1]
	v_and_or_b32 v15, v23, s18, v22
	v_lshrrev_b32_e32 v18, 8, v23
	v_bfe_u32 v21, v23, 20, 11
	v_lshrrev_b32_e32 v22, 16, v23
	v_and_or_b32 v23, v25, s18, v24
	v_cmp_ne_u32_e32 vcc, 0, v15
	v_cndmask_b32_e64 v15, 0, 1, vcc
	v_cmp_ne_u32_e32 vcc, 0, v23
	v_lshrrev_b32_e32 v24, 8, v25
	v_bfe_u32 v26, v25, 20, 11
	v_sub_u32_e32 v27, 0x3f1, v21
	v_cndmask_b32_e64 v23, 0, 1, vcc
	v_and_or_b32 v15, v18, s17, v15
	v_sub_u32_e32 v28, 0x3f1, v26
	v_med3_i32 v18, v27, 0, 13
	v_and_or_b32 v23, v24, s17, v23
	v_or_b32_e32 v27, 0x1000, v15
	v_add_u32_e32 v21, 0xfffffc10, v21
	v_med3_i32 v24, v28, 0, 13
	v_cmp_ne_u32_e32 vcc, 0, v15
	v_or_b32_e32 v29, 0x1000, v23
	v_lshrrev_b32_e32 v31, v18, v27
	v_add_u32_e32 v26, 0xfffffc10, v26
	v_lshl_or_b32 v28, v21, 12, v15
	v_cndmask_b32_e64 v15, 0, 1, vcc
	v_cmp_ne_u32_e32 vcc, 0, v23
	v_lshrrev_b32_e32 v32, v24, v29
	v_lshlrev_b32_e32 v18, v18, v31
	v_lshl_or_b32 v30, v26, 12, v23
	v_cndmask_b32_e64 v23, 0, 1, vcc
	v_lshlrev_b32_e32 v24, v24, v32
	v_cmp_ne_u32_e32 vcc, v18, v27
	v_cndmask_b32_e64 v18, 0, 1, vcc
	v_cmp_ne_u32_e32 vcc, v24, v29
	v_cndmask_b32_e64 v24, 0, 1, vcc
	v_or_b32_e32 v18, v31, v18
	v_cmp_gt_i32_e32 vcc, 1, v21
	v_cndmask_b32_e32 v18, v28, v18, vcc
	v_or_b32_e32 v24, v32, v24
	v_cmp_gt_i32_e32 vcc, 1, v26
	v_and_b32_e32 v27, 7, v18
	v_cndmask_b32_e32 v24, v30, v24, vcc
	v_cmp_lt_i32_e32 vcc, 5, v27
	v_cmp_eq_u32_e64 s[0:1], 3, v27
	v_lshrrev_b32_e32 v18, 2, v18
	v_and_b32_e32 v28, 7, v24
	s_or_b64 vcc, s[0:1], vcc
	v_cmp_lt_i32_e64 s[2:3], 5, v28
	v_cmp_eq_u32_e64 s[4:5], 3, v28
	v_addc_co_u32_e32 v18, vcc, 0, v18, vcc
	v_lshrrev_b32_e32 v24, 2, v24
	s_or_b64 vcc, s[4:5], s[2:3]
	v_addc_co_u32_e32 v24, vcc, 0, v24, vcc
	v_cmp_gt_i32_e32 vcc, 31, v21
	v_cndmask_b32_e32 v18, v5, v18, vcc
	v_cmp_gt_i32_e32 vcc, 31, v26
	v_lshl_or_b32 v15, v15, 9, v5
	v_cndmask_b32_e32 v24, v5, v24, vcc
	v_cmp_eq_u32_e32 vcc, s16, v21
	v_cndmask_b32_e32 v15, v18, v15, vcc
	v_and_or_b32 v15, v22, s10, v15
	v_cvt_f64_f32_e32 v[21:22], v9
	v_lshl_or_b32 v23, v23, 9, v5
	v_cmp_eq_u32_e32 vcc, s16, v26
	v_lshrrev_b32_e32 v25, 16, v25
	v_mul_f64 v[21:22], v[21:22], s[14:15]
	v_cndmask_b32_e32 v18, v24, v23, vcc
	v_and_or_b32 v18, v25, s10, v18
	v_and_b32_e32 v15, 0xffff, v15
	v_lshl_or_b32 v9, v18, 16, v15
	v_mov_b32_e32 v15, s13
	v_add_co_u32_e32 v0, vcc, s12, v0
	v_lshlrev_b64 v[2:3], 2, v[2:3]
	v_addc_co_u32_e32 v1, vcc, v15, v1, vcc
	v_add_co_u32_e32 v2, vcc, v0, v2
	v_addc_co_u32_e32 v3, vcc, v1, v3, vcc
	global_store_dword v[2:3], v9, off
	v_and_or_b32 v9, v22, s18, v21
	v_cmp_ne_u32_e32 vcc, 0, v9
	v_cndmask_b32_e64 v9, 0, 1, vcc
	v_lshrrev_b32_e32 v15, 8, v22
	v_bfe_u32 v18, v22, 20, 11
	v_and_or_b32 v15, v15, s17, v9
	v_sub_u32_e32 v21, 0x3f1, v18
	v_or_b32_e32 v9, 0x1000, v15
	v_med3_i32 v21, v21, 0, 13
	v_lshrrev_b32_e32 v23, v21, v9
	v_mul_f16_sdwa v16, v16, v8 dst_sel:DWORD dst_unused:UNUSED_PAD src0_sel:DWORD src1_sel:WORD_1
	v_lshlrev_b32_e32 v21, v21, v23
	v_fma_f16 v4, v8, v4, -v16
	v_cmp_ne_u32_e32 vcc, v21, v9
	v_cvt_f32_f16_e32 v4, v4
	v_cndmask_b32_e64 v9, 0, 1, vcc
	v_add_u32_e32 v18, 0xfffffc10, v18
	v_or_b32_e32 v9, v23, v9
	v_lshl_or_b32 v21, v18, 12, v15
	v_cmp_gt_i32_e32 vcc, 1, v18
	v_cndmask_b32_e32 v9, v21, v9, vcc
	v_and_b32_e32 v21, 7, v9
	v_lshrrev_b32_e32 v16, 2, v9
	v_cvt_f64_f32_e32 v[8:9], v4
	v_cmp_lt_i32_e32 vcc, 5, v21
	v_cmp_eq_u32_e64 s[0:1], 3, v21
	s_or_b64 vcc, s[0:1], vcc
	v_mul_f64 v[8:9], v[8:9], s[14:15]
	v_addc_co_u32_e32 v4, vcc, 0, v16, vcc
	v_cmp_gt_i32_e32 vcc, 31, v18
	v_cndmask_b32_e32 v4, v5, v4, vcc
	v_cmp_ne_u32_e32 vcc, 0, v15
	v_cndmask_b32_e64 v15, 0, 1, vcc
	v_lshl_or_b32 v15, v15, 9, v5
	v_cmp_eq_u32_e32 vcc, s16, v18
	v_and_or_b32 v8, v9, s18, v8
	v_cndmask_b32_e32 v4, v4, v15, vcc
	v_lshrrev_b32_e32 v15, 16, v22
	v_cmp_ne_u32_e32 vcc, 0, v8
	v_and_or_b32 v4, v15, s10, v4
	v_cndmask_b32_e64 v8, 0, 1, vcc
	v_lshrrev_b32_e32 v15, 8, v9
	v_bfe_u32 v16, v9, 20, 11
	v_and_or_b32 v8, v15, s17, v8
	v_sub_u32_e32 v18, 0x3f1, v16
	v_or_b32_e32 v15, 0x1000, v8
	v_med3_i32 v18, v18, 0, 13
	v_lshrrev_b32_e32 v21, v18, v15
	v_lshlrev_b32_e32 v18, v18, v21
	v_cmp_ne_u32_e32 vcc, v18, v15
	v_cndmask_b32_e64 v15, 0, 1, vcc
	v_add_u32_e32 v16, 0xfffffc10, v16
	v_or_b32_e32 v15, v21, v15
	v_lshl_or_b32 v18, v16, 12, v8
	v_cmp_gt_i32_e32 vcc, 1, v16
	v_cndmask_b32_e32 v15, v18, v15, vcc
	v_and_b32_e32 v18, 7, v15
	v_cmp_lt_i32_e32 vcc, 5, v18
	v_cmp_eq_u32_e64 s[0:1], 3, v18
	v_lshrrev_b32_e32 v15, 2, v15
	s_or_b64 vcc, s[0:1], vcc
	v_addc_co_u32_e32 v15, vcc, 0, v15, vcc
	v_cmp_gt_i32_e32 vcc, 31, v16
	v_cndmask_b32_e32 v15, v5, v15, vcc
	v_cmp_ne_u32_e32 vcc, 0, v8
	v_cndmask_b32_e64 v8, 0, 1, vcc
	v_lshl_or_b32 v8, v8, 9, v5
	v_cmp_eq_u32_e32 vcc, s16, v16
	v_cndmask_b32_e32 v8, v15, v8, vcc
	v_lshrrev_b32_e32 v15, 16, v17
	s_waitcnt vmcnt(6)
	v_mul_f16_sdwa v16, v15, v10 dst_sel:DWORD dst_unused:UNUSED_PAD src0_sel:DWORD src1_sel:WORD_1
	v_fma_f16 v16, v17, v10, v16
	v_cvt_f32_f16_e32 v16, v16
	v_lshrrev_b32_e32 v9, 16, v9
	v_and_or_b32 v8, v9, s10, v8
	v_and_b32_e32 v4, 0xffff, v4
	v_lshl_or_b32 v4, v8, 16, v4
	v_cvt_f64_f32_e32 v[8:9], v16
	s_mul_i32 s0, s9, 56
	s_mul_hi_u32 s2, s8, 56
	s_add_i32 s2, s2, s0
	v_mul_f64 v[8:9], v[8:9], s[14:15]
	s_mul_i32 s3, s8, 56
	v_mov_b32_e32 v16, s2
	v_add_co_u32_e32 v2, vcc, s3, v2
	v_addc_co_u32_e32 v3, vcc, v3, v16, vcc
	global_store_dword v[2:3], v4, off
	v_and_or_b32 v4, v9, s18, v8
	v_cmp_ne_u32_e32 vcc, 0, v4
	v_cndmask_b32_e64 v4, 0, 1, vcc
	v_lshrrev_b32_e32 v8, 8, v9
	v_bfe_u32 v16, v9, 20, 11
	v_and_or_b32 v4, v8, s17, v4
	v_sub_u32_e32 v18, 0x3f1, v16
	v_or_b32_e32 v8, 0x1000, v4
	v_med3_i32 v18, v18, 0, 13
	v_lshrrev_b32_e32 v21, v18, v8
	v_lshlrev_b32_e32 v18, v18, v21
	v_mul_f16_sdwa v17, v17, v10 dst_sel:DWORD dst_unused:UNUSED_PAD src0_sel:DWORD src1_sel:WORD_1
	v_cmp_ne_u32_e32 vcc, v18, v8
	v_fma_f16 v10, v10, v15, -v17
	v_cndmask_b32_e64 v8, 0, 1, vcc
	v_add_u32_e32 v18, 0xfffffc10, v16
	v_cvt_f32_f16_e32 v10, v10
	v_or_b32_e32 v8, v21, v8
	v_lshl_or_b32 v16, v18, 12, v4
	v_cmp_gt_i32_e32 vcc, 1, v18
	v_cndmask_b32_e32 v8, v16, v8, vcc
	v_and_b32_e32 v16, 7, v8
	v_cmp_lt_i32_e32 vcc, 5, v16
	v_cmp_eq_u32_e64 s[0:1], 3, v16
	v_cvt_f64_f32_e32 v[15:16], v10
	v_lshrrev_b32_e32 v8, 2, v8
	s_or_b64 vcc, s[0:1], vcc
	v_addc_co_u32_e32 v8, vcc, 0, v8, vcc
	v_mul_f64 v[15:16], v[15:16], s[14:15]
	v_cmp_gt_i32_e32 vcc, 31, v18
	v_cndmask_b32_e32 v8, v5, v8, vcc
	v_cmp_ne_u32_e32 vcc, 0, v4
	v_cndmask_b32_e64 v4, 0, 1, vcc
	v_lshl_or_b32 v4, v4, 9, v5
	v_cmp_eq_u32_e32 vcc, s16, v18
	v_cndmask_b32_e32 v4, v8, v4, vcc
	v_lshrrev_b32_e32 v8, 16, v9
	v_and_or_b32 v4, v8, s10, v4
	v_and_or_b32 v8, v16, s18, v15
	v_cmp_ne_u32_e32 vcc, 0, v8
	v_cndmask_b32_e64 v8, 0, 1, vcc
	v_lshrrev_b32_e32 v9, 8, v16
	v_and_or_b32 v10, v9, s17, v8
	v_bfe_u32 v9, v16, 20, 11
	v_sub_u32_e32 v15, 0x3f1, v9
	v_or_b32_e32 v8, 0x1000, v10
	v_med3_i32 v15, v15, 0, 13
	v_lshrrev_b32_e32 v17, v15, v8
	v_lshlrev_b32_e32 v15, v15, v17
	v_cmp_ne_u32_e32 vcc, v15, v8
	v_cndmask_b32_e64 v8, 0, 1, vcc
	v_add_u32_e32 v15, 0xfffffc10, v9
	v_or_b32_e32 v8, v17, v8
	v_lshl_or_b32 v9, v15, 12, v10
	v_cmp_gt_i32_e32 vcc, 1, v15
	v_cndmask_b32_e32 v8, v9, v8, vcc
	v_and_b32_e32 v9, 7, v8
	v_cmp_lt_i32_e32 vcc, 5, v9
	v_cmp_eq_u32_e64 s[0:1], 3, v9
	v_lshrrev_b32_e32 v8, 2, v8
	s_or_b64 vcc, s[0:1], vcc
	v_addc_co_u32_e32 v17, vcc, 0, v8, vcc
	ds_read2_b32 v[8:9], v6 offset0:42 offset1:56
	v_cmp_gt_i32_e32 vcc, 31, v15
	v_cndmask_b32_e32 v17, v5, v17, vcc
	v_cmp_ne_u32_e32 vcc, 0, v10
	v_cndmask_b32_e64 v10, 0, 1, vcc
	s_waitcnt lgkmcnt(0)
	v_lshrrev_b32_e32 v21, 16, v8
	s_waitcnt vmcnt(6)
	v_mul_f16_sdwa v18, v21, v11 dst_sel:DWORD dst_unused:UNUSED_PAD src0_sel:DWORD src1_sel:WORD_1
	v_fma_f16 v18, v8, v11, v18
	v_cvt_f32_f16_e32 v18, v18
	v_lshl_or_b32 v10, v10, 9, v5
	v_cmp_eq_u32_e32 vcc, s16, v15
	v_cndmask_b32_e32 v10, v17, v10, vcc
	v_cvt_f64_f32_e32 v[17:18], v18
	v_lshrrev_b32_e32 v15, 16, v16
	v_and_or_b32 v10, v15, s10, v10
	v_and_b32_e32 v4, 0xffff, v4
	v_mul_f64 v[15:16], v[17:18], s[14:15]
	v_lshl_or_b32 v4, v10, 16, v4
	v_mov_b32_e32 v10, s2
	v_add_co_u32_e32 v2, vcc, s3, v2
	v_addc_co_u32_e32 v3, vcc, v3, v10, vcc
	global_store_dword v[2:3], v4, off
	v_and_or_b32 v4, v16, s18, v15
	v_cmp_ne_u32_e32 vcc, 0, v4
	v_cndmask_b32_e64 v4, 0, 1, vcc
	v_lshrrev_b32_e32 v10, 8, v16
	v_bfe_u32 v15, v16, 20, 11
	v_and_or_b32 v4, v10, s17, v4
	v_sub_u32_e32 v17, 0x3f1, v15
	v_or_b32_e32 v10, 0x1000, v4
	v_med3_i32 v17, v17, 0, 13
	v_lshrrev_b32_e32 v18, v17, v10
	v_lshlrev_b32_e32 v17, v17, v18
	v_mul_f16_sdwa v8, v8, v11 dst_sel:DWORD dst_unused:UNUSED_PAD src0_sel:DWORD src1_sel:WORD_1
	v_cmp_ne_u32_e32 vcc, v17, v10
	v_fma_f16 v8, v11, v21, -v8
	v_cndmask_b32_e64 v10, 0, 1, vcc
	v_add_u32_e32 v15, 0xfffffc10, v15
	v_cvt_f32_f16_e32 v8, v8
	v_or_b32_e32 v10, v18, v10
	v_lshl_or_b32 v17, v15, 12, v4
	v_cmp_gt_i32_e32 vcc, 1, v15
	v_cndmask_b32_e32 v10, v17, v10, vcc
	v_and_b32_e32 v17, 7, v10
	v_cmp_lt_i32_e32 vcc, 5, v17
	v_cmp_eq_u32_e64 s[0:1], 3, v17
	v_lshrrev_b32_e32 v17, 2, v10
	v_cvt_f64_f32_e32 v[10:11], v8
	s_or_b64 vcc, s[0:1], vcc
	v_addc_co_u32_e32 v8, vcc, 0, v17, vcc
	v_mul_f64 v[10:11], v[10:11], s[14:15]
	v_cmp_gt_i32_e32 vcc, 31, v15
	v_cndmask_b32_e32 v8, v5, v8, vcc
	v_cmp_ne_u32_e32 vcc, 0, v4
	v_cndmask_b32_e64 v4, 0, 1, vcc
	v_lshl_or_b32 v4, v4, 9, v5
	v_cmp_eq_u32_e32 vcc, s16, v15
	v_cndmask_b32_e32 v4, v8, v4, vcc
	v_lshrrev_b32_e32 v8, 16, v16
	v_and_or_b32 v4, v8, s10, v4
	v_and_or_b32 v8, v11, s18, v10
	v_cmp_ne_u32_e32 vcc, 0, v8
	v_cndmask_b32_e64 v8, 0, 1, vcc
	v_lshrrev_b32_e32 v10, 8, v11
	v_bfe_u32 v15, v11, 20, 11
	v_and_or_b32 v8, v10, s17, v8
	v_sub_u32_e32 v16, 0x3f1, v15
	v_or_b32_e32 v10, 0x1000, v8
	v_med3_i32 v16, v16, 0, 13
	v_lshrrev_b32_e32 v17, v16, v10
	v_lshlrev_b32_e32 v16, v16, v17
	v_cmp_ne_u32_e32 vcc, v16, v10
	v_cndmask_b32_e64 v10, 0, 1, vcc
	v_add_u32_e32 v15, 0xfffffc10, v15
	v_or_b32_e32 v10, v17, v10
	v_lshl_or_b32 v16, v15, 12, v8
	v_cmp_gt_i32_e32 vcc, 1, v15
	v_cndmask_b32_e32 v10, v16, v10, vcc
	v_and_b32_e32 v16, 7, v10
	v_lshrrev_b32_e32 v17, 16, v9
	v_cmp_lt_i32_e32 vcc, 5, v16
	v_cmp_eq_u32_e64 s[0:1], 3, v16
	s_waitcnt vmcnt(6)
	v_mul_f16_sdwa v16, v17, v12 dst_sel:DWORD dst_unused:UNUSED_PAD src0_sel:DWORD src1_sel:WORD_1
	v_fma_f16 v16, v9, v12, v16
	v_lshrrev_b32_e32 v10, 2, v10
	s_or_b64 vcc, s[0:1], vcc
	v_cvt_f32_f16_e32 v16, v16
	v_addc_co_u32_e32 v10, vcc, 0, v10, vcc
	v_cmp_gt_i32_e32 vcc, 31, v15
	v_cndmask_b32_e32 v10, v5, v10, vcc
	v_cmp_ne_u32_e32 vcc, 0, v8
	v_cndmask_b32_e64 v8, 0, 1, vcc
	v_cmp_eq_u32_e32 vcc, s16, v15
	v_cvt_f64_f32_e32 v[15:16], v16
	v_lshl_or_b32 v8, v8, 9, v5
	v_cndmask_b32_e32 v8, v10, v8, vcc
	v_lshrrev_b32_e32 v10, 16, v11
	v_and_or_b32 v8, v10, s10, v8
	v_mul_f64 v[10:11], v[15:16], s[14:15]
	v_and_b32_e32 v4, 0xffff, v4
	v_lshl_or_b32 v4, v8, 16, v4
	v_mov_b32_e32 v8, s2
	v_add_co_u32_e32 v2, vcc, s3, v2
	v_addc_co_u32_e32 v3, vcc, v3, v8, vcc
	global_store_dword v[2:3], v4, off
	v_and_or_b32 v4, v11, s18, v10
	v_cmp_ne_u32_e32 vcc, 0, v4
	v_cndmask_b32_e64 v4, 0, 1, vcc
	v_lshrrev_b32_e32 v8, 8, v11
	v_bfe_u32 v10, v11, 20, 11
	v_and_or_b32 v4, v8, s17, v4
	v_sub_u32_e32 v15, 0x3f1, v10
	v_or_b32_e32 v8, 0x1000, v4
	v_med3_i32 v15, v15, 0, 13
	v_lshrrev_b32_e32 v16, v15, v8
	v_mul_f16_sdwa v9, v9, v12 dst_sel:DWORD dst_unused:UNUSED_PAD src0_sel:DWORD src1_sel:WORD_1
	v_lshlrev_b32_e32 v15, v15, v16
	v_fma_f16 v9, v12, v17, -v9
	v_cmp_ne_u32_e32 vcc, v15, v8
	v_cvt_f32_f16_e32 v9, v9
	v_cndmask_b32_e64 v8, 0, 1, vcc
	v_add_u32_e32 v10, 0xfffffc10, v10
	v_or_b32_e32 v8, v16, v8
	v_lshl_or_b32 v15, v10, 12, v4
	v_cmp_gt_i32_e32 vcc, 1, v10
	v_cndmask_b32_e32 v8, v15, v8, vcc
	v_and_b32_e32 v15, 7, v8
	v_lshrrev_b32_e32 v12, 2, v8
	v_cvt_f64_f32_e32 v[8:9], v9
	v_cmp_lt_i32_e32 vcc, 5, v15
	v_cmp_eq_u32_e64 s[0:1], 3, v15
	s_or_b64 vcc, s[0:1], vcc
	v_mul_f64 v[8:9], v[8:9], s[14:15]
	v_addc_co_u32_e32 v12, vcc, 0, v12, vcc
	v_cmp_gt_i32_e32 vcc, 31, v10
	v_cndmask_b32_e32 v12, v5, v12, vcc
	v_cmp_ne_u32_e32 vcc, 0, v4
	v_cndmask_b32_e64 v4, 0, 1, vcc
	v_lshl_or_b32 v4, v4, 9, v5
	v_cmp_eq_u32_e32 vcc, s16, v10
	v_and_or_b32 v8, v9, s18, v8
	v_cndmask_b32_e32 v4, v12, v4, vcc
	v_lshrrev_b32_e32 v10, 16, v11
	v_cmp_ne_u32_e32 vcc, 0, v8
	v_and_or_b32 v4, v10, s10, v4
	v_cndmask_b32_e64 v8, 0, 1, vcc
	v_lshrrev_b32_e32 v10, 8, v9
	v_bfe_u32 v11, v9, 20, 11
	v_and_or_b32 v8, v10, s17, v8
	v_sub_u32_e32 v12, 0x3f1, v11
	v_or_b32_e32 v10, 0x1000, v8
	v_med3_i32 v12, v12, 0, 13
	v_lshrrev_b32_e32 v15, v12, v10
	v_lshlrev_b32_e32 v12, v12, v15
	v_cmp_ne_u32_e32 vcc, v12, v10
	v_cndmask_b32_e64 v10, 0, 1, vcc
	v_add_u32_e32 v12, 0xfffffc10, v11
	v_or_b32_e32 v10, v15, v10
	v_lshl_or_b32 v11, v12, 12, v8
	v_cmp_gt_i32_e32 vcc, 1, v12
	v_cndmask_b32_e32 v10, v11, v10, vcc
	v_and_b32_e32 v11, 7, v10
	v_cmp_lt_i32_e32 vcc, 5, v11
	v_cmp_eq_u32_e64 s[0:1], 3, v11
	v_lshrrev_b32_e32 v10, 2, v10
	s_or_b64 vcc, s[0:1], vcc
	v_addc_co_u32_e32 v15, vcc, 0, v10, vcc
	ds_read2_b32 v[10:11], v6 offset0:70 offset1:84
	v_cmp_gt_i32_e32 vcc, 31, v12
	v_cndmask_b32_e32 v15, v5, v15, vcc
	v_cmp_ne_u32_e32 vcc, 0, v8
	v_cndmask_b32_e64 v8, 0, 1, vcc
	s_waitcnt lgkmcnt(0)
	v_lshrrev_b32_e32 v17, 16, v10
	s_waitcnt vmcnt(6)
	v_mul_f16_sdwa v16, v17, v13 dst_sel:DWORD dst_unused:UNUSED_PAD src0_sel:DWORD src1_sel:WORD_1
	v_fma_f16 v16, v10, v13, v16
	v_cvt_f32_f16_e32 v16, v16
	v_lshl_or_b32 v8, v8, 9, v5
	v_cmp_eq_u32_e32 vcc, s16, v12
	v_cndmask_b32_e32 v8, v15, v8, vcc
	v_cvt_f64_f32_e32 v[15:16], v16
	v_lshrrev_b32_e32 v9, 16, v9
	v_and_or_b32 v12, v9, s10, v8
	v_and_b32_e32 v4, 0xffff, v4
	v_mul_f64 v[8:9], v[15:16], s[14:15]
	v_lshl_or_b32 v4, v12, 16, v4
	v_mov_b32_e32 v12, s2
	v_add_co_u32_e32 v2, vcc, s3, v2
	v_addc_co_u32_e32 v3, vcc, v3, v12, vcc
	global_store_dword v[2:3], v4, off
	v_and_or_b32 v4, v9, s18, v8
	v_cmp_ne_u32_e32 vcc, 0, v4
	v_cndmask_b32_e64 v4, 0, 1, vcc
	v_lshrrev_b32_e32 v8, 8, v9
	v_bfe_u32 v12, v9, 20, 11
	v_and_or_b32 v4, v8, s17, v4
	v_sub_u32_e32 v15, 0x3f1, v12
	v_or_b32_e32 v8, 0x1000, v4
	v_med3_i32 v15, v15, 0, 13
	v_lshrrev_b32_e32 v16, v15, v8
	v_lshlrev_b32_e32 v15, v15, v16
	v_mul_f16_sdwa v10, v10, v13 dst_sel:DWORD dst_unused:UNUSED_PAD src0_sel:DWORD src1_sel:WORD_1
	v_cmp_ne_u32_e32 vcc, v15, v8
	v_fma_f16 v10, v13, v17, -v10
	v_cndmask_b32_e64 v8, 0, 1, vcc
	v_add_u32_e32 v15, 0xfffffc10, v12
	v_cvt_f32_f16_e32 v10, v10
	v_or_b32_e32 v8, v16, v8
	v_lshl_or_b32 v12, v15, 12, v4
	v_cmp_gt_i32_e32 vcc, 1, v15
	v_cndmask_b32_e32 v8, v12, v8, vcc
	v_and_b32_e32 v12, 7, v8
	v_cmp_lt_i32_e32 vcc, 5, v12
	v_cmp_eq_u32_e64 s[0:1], 3, v12
	v_cvt_f64_f32_e32 v[12:13], v10
	v_lshrrev_b32_e32 v8, 2, v8
	s_or_b64 vcc, s[0:1], vcc
	v_addc_co_u32_e32 v8, vcc, 0, v8, vcc
	v_mul_f64 v[12:13], v[12:13], s[14:15]
	v_cmp_gt_i32_e32 vcc, 31, v15
	v_cndmask_b32_e32 v8, v5, v8, vcc
	v_cmp_ne_u32_e32 vcc, 0, v4
	v_cndmask_b32_e64 v4, 0, 1, vcc
	v_lshl_or_b32 v4, v4, 9, v5
	v_cmp_eq_u32_e32 vcc, s16, v15
	v_cndmask_b32_e32 v4, v8, v4, vcc
	v_lshrrev_b32_e32 v8, 16, v9
	v_and_or_b32 v4, v8, s10, v4
	v_and_or_b32 v8, v13, s18, v12
	v_cmp_ne_u32_e32 vcc, 0, v8
	v_cndmask_b32_e64 v8, 0, 1, vcc
	v_lshrrev_b32_e32 v9, 8, v13
	v_bfe_u32 v10, v13, 20, 11
	v_and_or_b32 v8, v9, s17, v8
	v_sub_u32_e32 v12, 0x3f1, v10
	v_or_b32_e32 v9, 0x1000, v8
	v_med3_i32 v12, v12, 0, 13
	v_lshrrev_b32_e32 v15, v12, v9
	v_lshlrev_b32_e32 v12, v12, v15
	v_cmp_ne_u32_e32 vcc, v12, v9
	v_cndmask_b32_e64 v9, 0, 1, vcc
	v_add_u32_e32 v10, 0xfffffc10, v10
	v_or_b32_e32 v9, v15, v9
	v_lshl_or_b32 v12, v10, 12, v8
	v_cmp_gt_i32_e32 vcc, 1, v10
	v_cndmask_b32_e32 v9, v12, v9, vcc
	v_and_b32_e32 v12, 7, v9
	v_cmp_lt_i32_e32 vcc, 5, v12
	v_cmp_eq_u32_e64 s[0:1], 3, v12
	v_lshrrev_b32_e32 v12, 16, v11
	v_lshrrev_b32_e32 v9, 2, v9
	s_or_b64 vcc, s[0:1], vcc
	s_waitcnt vmcnt(6)
	v_mul_f16_sdwa v15, v12, v14 dst_sel:DWORD dst_unused:UNUSED_PAD src0_sel:DWORD src1_sel:WORD_1
	v_addc_co_u32_e32 v9, vcc, 0, v9, vcc
	v_fma_f16 v15, v11, v14, v15
	v_cmp_gt_i32_e32 vcc, 31, v10
	v_cvt_f32_f16_e32 v15, v15
	v_cndmask_b32_e32 v9, v5, v9, vcc
	v_cmp_ne_u32_e32 vcc, 0, v8
	v_cndmask_b32_e64 v8, 0, 1, vcc
	v_lshl_or_b32 v8, v8, 9, v5
	v_cmp_eq_u32_e32 vcc, s16, v10
	v_cndmask_b32_e32 v10, v9, v8, vcc
	v_cvt_f64_f32_e32 v[8:9], v15
	v_lshrrev_b32_e32 v13, 16, v13
	v_and_or_b32 v10, v13, s10, v10
	v_and_b32_e32 v4, 0xffff, v4
	v_mul_f64 v[8:9], v[8:9], s[14:15]
	v_lshl_or_b32 v4, v10, 16, v4
	v_mov_b32_e32 v10, s2
	v_add_co_u32_e32 v2, vcc, s3, v2
	v_addc_co_u32_e32 v3, vcc, v3, v10, vcc
	global_store_dword v[2:3], v4, off
	v_and_or_b32 v4, v9, s18, v8
	v_cmp_ne_u32_e32 vcc, 0, v4
	v_cndmask_b32_e64 v4, 0, 1, vcc
	v_lshrrev_b32_e32 v8, 8, v9
	v_bfe_u32 v10, v9, 20, 11
	v_and_or_b32 v4, v8, s17, v4
	v_sub_u32_e32 v13, 0x3f1, v10
	v_or_b32_e32 v8, 0x1000, v4
	v_med3_i32 v13, v13, 0, 13
	v_lshrrev_b32_e32 v15, v13, v8
	v_lshlrev_b32_e32 v13, v13, v15
	v_mul_f16_sdwa v11, v11, v14 dst_sel:DWORD dst_unused:UNUSED_PAD src0_sel:DWORD src1_sel:WORD_1
	v_cmp_ne_u32_e32 vcc, v13, v8
	v_fma_f16 v11, v14, v12, -v11
	v_cndmask_b32_e64 v8, 0, 1, vcc
	v_add_u32_e32 v13, 0xfffffc10, v10
	v_cvt_f32_f16_e32 v11, v11
	v_or_b32_e32 v8, v15, v8
	v_lshl_or_b32 v10, v13, 12, v4
	v_cmp_gt_i32_e32 vcc, 1, v13
	v_cndmask_b32_e32 v8, v10, v8, vcc
	v_and_b32_e32 v10, 7, v8
	v_cmp_lt_i32_e32 vcc, 5, v10
	v_cmp_eq_u32_e64 s[0:1], 3, v10
	v_cvt_f64_f32_e32 v[10:11], v11
	v_lshrrev_b32_e32 v8, 2, v8
	s_or_b64 vcc, s[0:1], vcc
	v_addc_co_u32_e32 v8, vcc, 0, v8, vcc
	v_mul_f64 v[10:11], v[10:11], s[14:15]
	v_cmp_gt_i32_e32 vcc, 31, v13
	v_cndmask_b32_e32 v8, v5, v8, vcc
	v_cmp_ne_u32_e32 vcc, 0, v4
	v_cndmask_b32_e64 v4, 0, 1, vcc
	v_lshl_or_b32 v4, v4, 9, v5
	v_cmp_eq_u32_e32 vcc, s16, v13
	v_cndmask_b32_e32 v4, v8, v4, vcc
	v_lshrrev_b32_e32 v8, 16, v9
	v_and_or_b32 v4, v8, s10, v4
	v_and_or_b32 v8, v11, s18, v10
	v_cmp_ne_u32_e32 vcc, 0, v8
	v_cndmask_b32_e64 v8, 0, 1, vcc
	v_lshrrev_b32_e32 v9, 8, v11
	v_and_or_b32 v10, v9, s17, v8
	v_bfe_u32 v9, v11, 20, 11
	v_sub_u32_e32 v12, 0x3f1, v9
	v_or_b32_e32 v8, 0x1000, v10
	v_med3_i32 v12, v12, 0, 13
	v_lshrrev_b32_e32 v13, v12, v8
	v_lshlrev_b32_e32 v12, v12, v13
	v_cmp_ne_u32_e32 vcc, v12, v8
	v_cndmask_b32_e64 v8, 0, 1, vcc
	v_add_u32_e32 v12, 0xfffffc10, v9
	v_or_b32_e32 v8, v13, v8
	v_lshl_or_b32 v9, v12, 12, v10
	v_cmp_gt_i32_e32 vcc, 1, v12
	v_cndmask_b32_e32 v8, v9, v8, vcc
	v_and_b32_e32 v9, 7, v8
	v_cmp_lt_i32_e32 vcc, 5, v9
	v_cmp_eq_u32_e64 s[0:1], 3, v9
	v_lshrrev_b32_e32 v8, 2, v8
	s_or_b64 vcc, s[0:1], vcc
	v_addc_co_u32_e32 v13, vcc, 0, v8, vcc
	ds_read2_b32 v[8:9], v6 offset0:98 offset1:112
	v_cmp_gt_i32_e32 vcc, 31, v12
	v_cndmask_b32_e32 v13, v5, v13, vcc
	v_cmp_ne_u32_e32 vcc, 0, v10
	v_cndmask_b32_e64 v10, 0, 1, vcc
	s_waitcnt lgkmcnt(0)
	v_lshrrev_b32_e32 v14, 16, v8
	s_waitcnt vmcnt(6)
	v_mul_f16_sdwa v15, v14, v7 dst_sel:DWORD dst_unused:UNUSED_PAD src0_sel:DWORD src1_sel:WORD_1
	v_fma_f16 v15, v8, v7, v15
	v_cvt_f32_f16_e32 v15, v15
	v_lshl_or_b32 v10, v10, 9, v5
	v_cmp_eq_u32_e32 vcc, s16, v12
	v_cndmask_b32_e32 v10, v13, v10, vcc
	v_cvt_f64_f32_e32 v[12:13], v15
	v_lshrrev_b32_e32 v11, 16, v11
	v_and_or_b32 v15, v11, s10, v10
	v_and_b32_e32 v4, 0xffff, v4
	v_mul_f64 v[10:11], v[12:13], s[14:15]
	global_load_dword v12, v20, s[6:7] offset:448
	v_mov_b32_e32 v13, s2
	v_add_co_u32_e32 v2, vcc, s3, v2
	v_lshl_or_b32 v4, v15, 16, v4
	v_addc_co_u32_e32 v3, vcc, v3, v13, vcc
	global_store_dword v[2:3], v4, off
	v_and_or_b32 v4, v11, s18, v10
	v_mul_f16_sdwa v8, v8, v7 dst_sel:DWORD dst_unused:UNUSED_PAD src0_sel:DWORD src1_sel:WORD_1
	v_cmp_ne_u32_e32 vcc, 0, v4
	v_fma_f16 v7, v7, v14, -v8
	v_cndmask_b32_e64 v4, 0, 1, vcc
	v_lshrrev_b32_e32 v10, 8, v11
	v_bfe_u32 v13, v11, 20, 11
	v_cvt_f32_f16_e32 v7, v7
	v_and_or_b32 v4, v10, s17, v4
	v_sub_u32_e32 v15, 0x3f1, v13
	v_or_b32_e32 v10, 0x1000, v4
	v_med3_i32 v15, v15, 0, 13
	v_lshrrev_b32_e32 v16, v15, v10
	v_lshlrev_b32_e32 v15, v15, v16
	v_cvt_f64_f32_e32 v[7:8], v7
	v_cmp_ne_u32_e32 vcc, v15, v10
	v_cndmask_b32_e64 v10, 0, 1, vcc
	v_add_u32_e32 v13, 0xfffffc10, v13
	v_or_b32_e32 v10, v16, v10
	v_lshl_or_b32 v15, v13, 12, v4
	v_cmp_gt_i32_e32 vcc, 1, v13
	v_cndmask_b32_e32 v10, v15, v10, vcc
	v_mul_f64 v[7:8], v[7:8], s[14:15]
	v_and_b32_e32 v15, 7, v10
	v_cmp_lt_i32_e32 vcc, 5, v15
	v_cmp_eq_u32_e64 s[0:1], 3, v15
	v_lshrrev_b32_e32 v10, 2, v10
	s_or_b64 vcc, s[0:1], vcc
	v_addc_co_u32_e32 v10, vcc, 0, v10, vcc
	v_cmp_gt_i32_e32 vcc, 31, v13
	v_cndmask_b32_e32 v10, v5, v10, vcc
	v_cmp_ne_u32_e32 vcc, 0, v4
	v_cndmask_b32_e64 v4, 0, 1, vcc
	v_lshl_or_b32 v4, v4, 9, v5
	v_cmp_eq_u32_e32 vcc, s16, v13
	v_and_or_b32 v7, v8, s18, v7
	v_cndmask_b32_e32 v4, v10, v4, vcc
	v_lshrrev_b32_e32 v10, 16, v11
	v_cmp_ne_u32_e32 vcc, 0, v7
	v_and_or_b32 v4, v10, s10, v4
	v_cndmask_b32_e64 v7, 0, 1, vcc
	v_lshrrev_b32_e32 v10, 8, v8
	v_bfe_u32 v11, v8, 20, 11
	v_and_or_b32 v7, v10, s17, v7
	v_sub_u32_e32 v13, 0x3f1, v11
	v_or_b32_e32 v10, 0x1000, v7
	v_med3_i32 v13, v13, 0, 13
	v_lshrrev_b32_e32 v14, v13, v10
	v_lshlrev_b32_e32 v13, v13, v14
	v_cmp_ne_u32_e32 vcc, v13, v10
	v_cndmask_b32_e64 v10, 0, 1, vcc
	v_or_b32_e32 v10, v14, v10
	global_load_dword v14, v20, s[6:7] offset:504
	global_load_dword v15, v20, s[6:7] offset:560
	v_add_u32_e32 v11, 0xfffffc10, v11
	v_lshl_or_b32 v13, v11, 12, v7
	v_cmp_gt_i32_e32 vcc, 1, v11
	v_cndmask_b32_e32 v10, v13, v10, vcc
	v_and_b32_e32 v13, 7, v10
	v_cmp_lt_i32_e32 vcc, 5, v13
	v_cmp_eq_u32_e64 s[0:1], 3, v13
	v_lshrrev_b32_e32 v13, 16, v9
	v_lshrrev_b32_e32 v10, 2, v10
	s_or_b64 vcc, s[0:1], vcc
	v_addc_co_u32_e32 v10, vcc, 0, v10, vcc
	v_cmp_gt_i32_e32 vcc, 31, v11
	v_cndmask_b32_e32 v10, v5, v10, vcc
	v_cmp_ne_u32_e32 vcc, 0, v7
	v_cndmask_b32_e64 v7, 0, 1, vcc
	v_lshl_or_b32 v7, v7, 9, v5
	v_cmp_eq_u32_e32 vcc, s16, v11
	s_waitcnt vmcnt(3)
	v_mul_f16_sdwa v16, v13, v12 dst_sel:DWORD dst_unused:UNUSED_PAD src0_sel:DWORD src1_sel:WORD_1
	v_fma_f16 v16, v9, v12, v16
	v_cvt_f32_f16_e32 v16, v16
	v_cndmask_b32_e32 v10, v10, v7, vcc
	v_lshrrev_b32_e32 v11, 16, v8
	v_and_or_b32 v10, v11, s10, v10
	v_cvt_f64_f32_e32 v[7:8], v16
	v_and_b32_e32 v4, 0xffff, v4
	v_lshl_or_b32 v4, v10, 16, v4
	v_mov_b32_e32 v10, s2
	v_mul_f64 v[7:8], v[7:8], s[14:15]
	v_add_co_u32_e32 v2, vcc, s3, v2
	v_addc_co_u32_e32 v3, vcc, v3, v10, vcc
	global_store_dword v[2:3], v4, off
	v_mul_f16_sdwa v9, v9, v12 dst_sel:DWORD dst_unused:UNUSED_PAD src0_sel:DWORD src1_sel:WORD_1
	v_fma_f16 v9, v12, v13, -v9
	v_and_or_b32 v4, v8, s18, v7
	v_cmp_ne_u32_e32 vcc, 0, v4
	v_cndmask_b32_e64 v4, 0, 1, vcc
	v_lshrrev_b32_e32 v7, 8, v8
	v_bfe_u32 v10, v8, 20, 11
	v_and_or_b32 v4, v7, s17, v4
	v_sub_u32_e32 v11, 0x3f1, v10
	v_or_b32_e32 v7, 0x1000, v4
	v_med3_i32 v11, v11, 0, 13
	v_lshrrev_b32_e32 v17, v11, v7
	v_lshlrev_b32_e32 v11, v11, v17
	v_cmp_ne_u32_e32 vcc, v11, v7
	v_cndmask_b32_e64 v7, 0, 1, vcc
	v_add_u32_e32 v11, 0xfffffc10, v10
	v_cvt_f32_f16_e32 v9, v9
	v_or_b32_e32 v7, v17, v7
	v_lshl_or_b32 v10, v11, 12, v4
	v_cmp_gt_i32_e32 vcc, 1, v11
	v_cndmask_b32_e32 v7, v10, v7, vcc
	v_and_b32_e32 v10, 7, v7
	v_cmp_lt_i32_e32 vcc, 5, v10
	v_cmp_eq_u32_e64 s[0:1], 3, v10
	v_cvt_f64_f32_e32 v[9:10], v9
	v_lshrrev_b32_e32 v7, 2, v7
	s_or_b64 vcc, s[0:1], vcc
	v_addc_co_u32_e32 v7, vcc, 0, v7, vcc
	v_mul_f64 v[9:10], v[9:10], s[14:15]
	v_cmp_gt_i32_e32 vcc, 31, v11
	v_cndmask_b32_e32 v7, v5, v7, vcc
	v_cmp_ne_u32_e32 vcc, 0, v4
	v_cndmask_b32_e64 v4, 0, 1, vcc
	v_lshl_or_b32 v4, v4, 9, v5
	v_cmp_eq_u32_e32 vcc, s16, v11
	v_cndmask_b32_e32 v4, v7, v4, vcc
	v_lshrrev_b32_e32 v7, 16, v8
	v_and_or_b32 v13, v7, s10, v4
	v_and_or_b32 v4, v10, s18, v9
	v_cmp_ne_u32_e32 vcc, 0, v4
	v_cndmask_b32_e64 v4, 0, 1, vcc
	v_lshrrev_b32_e32 v7, 8, v10
	v_bfe_u32 v8, v10, 20, 11
	v_and_or_b32 v4, v7, s17, v4
	v_sub_u32_e32 v9, 0x3f1, v8
	v_or_b32_e32 v7, 0x1000, v4
	v_med3_i32 v9, v9, 0, 13
	v_lshrrev_b32_e32 v11, v9, v7
	v_lshlrev_b32_e32 v9, v9, v11
	v_cmp_ne_u32_e32 vcc, v9, v7
	v_cndmask_b32_e64 v7, 0, 1, vcc
	v_add_u32_e32 v9, 0xfffffc10, v8
	v_or_b32_e32 v7, v11, v7
	v_lshl_or_b32 v8, v9, 12, v4
	v_cmp_gt_i32_e32 vcc, 1, v9
	v_cndmask_b32_e32 v7, v8, v7, vcc
	v_and_b32_e32 v8, 7, v7
	v_cmp_lt_i32_e32 vcc, 5, v8
	v_cmp_eq_u32_e64 s[0:1], 3, v8
	v_lshrrev_b32_e32 v7, 2, v7
	s_or_b64 vcc, s[0:1], vcc
	v_addc_co_u32_e32 v7, vcc, 0, v7, vcc
	ds_read2_b32 v[11:12], v6 offset0:126 offset1:140
	v_or_b32_e32 v16, 0x70, v19
	v_cmp_gt_i32_e32 vcc, 31, v9
	v_cndmask_b32_e32 v17, v5, v7, vcc
	v_cmp_ne_u32_e32 vcc, 0, v4
	v_mad_u64_u32 v[7:8], s[0:1], s8, v16, 0
	v_cndmask_b32_e64 v4, 0, 1, vcc
	v_lshl_or_b32 v4, v4, 9, v5
	v_cmp_eq_u32_e32 vcc, s16, v9
	v_cndmask_b32_e32 v6, v17, v4, vcc
	s_waitcnt lgkmcnt(0)
	v_lshrrev_b32_e32 v17, 16, v11
	v_mov_b32_e32 v4, v8
	s_waitcnt vmcnt(2)
	v_mul_f16_sdwa v8, v17, v14 dst_sel:DWORD dst_unused:UNUSED_PAD src0_sel:DWORD src1_sel:WORD_1
	v_fma_f16 v8, v11, v14, v8
	v_cvt_f32_f16_e32 v18, v8
	v_mad_u64_u32 v[8:9], s[0:1], s9, v16, v[4:5]
	v_lshrrev_b32_e32 v4, 16, v10
	v_cvt_f64_f32_e32 v[9:10], v18
	v_and_or_b32 v4, v4, s10, v6
	v_and_b32_e32 v6, 0xffff, v13
	v_lshl_or_b32 v4, v4, 16, v6
	v_mul_f64 v[9:10], v[9:10], s[14:15]
	v_lshlrev_b64 v[6:7], 2, v[7:8]
	v_add_co_u32_e32 v0, vcc, v0, v6
	v_addc_co_u32_e32 v1, vcc, v1, v7, vcc
	global_store_dword v[0:1], v4, off
	v_and_or_b32 v0, v10, s18, v9
	v_cmp_ne_u32_e32 vcc, 0, v0
	v_cndmask_b32_e64 v0, 0, 1, vcc
	v_lshrrev_b32_e32 v1, 8, v10
	v_and_or_b32 v4, v1, s17, v0
	v_bfe_u32 v1, v10, 20, 11
	v_sub_u32_e32 v6, 0x3f1, v1
	v_or_b32_e32 v0, 0x1000, v4
	v_med3_i32 v6, v6, 0, 13
	v_lshrrev_b32_e32 v7, v6, v0
	v_lshlrev_b32_e32 v6, v6, v7
	v_cmp_ne_u32_e32 vcc, v6, v0
	v_cndmask_b32_e64 v0, 0, 1, vcc
	v_or_b32_e32 v0, v7, v0
	v_mul_f16_sdwa v7, v11, v14 dst_sel:DWORD dst_unused:UNUSED_PAD src0_sel:DWORD src1_sel:WORD_1
	v_fma_f16 v7, v14, v17, -v7
	v_add_u32_e32 v6, 0xfffffc10, v1
	v_cvt_f32_f16_e32 v7, v7
	v_lshl_or_b32 v1, v6, 12, v4
	v_cmp_gt_i32_e32 vcc, 1, v6
	v_cndmask_b32_e32 v0, v1, v0, vcc
	v_and_b32_e32 v1, 7, v0
	v_cmp_lt_i32_e32 vcc, 5, v1
	v_cmp_eq_u32_e64 s[0:1], 3, v1
	v_lshrrev_b32_e32 v8, 2, v0
	v_cvt_f64_f32_e32 v[0:1], v7
	s_or_b64 vcc, s[0:1], vcc
	v_addc_co_u32_e32 v7, vcc, 0, v8, vcc
	v_mul_f64 v[0:1], v[0:1], s[14:15]
	v_cmp_gt_i32_e32 vcc, 31, v6
	v_cndmask_b32_e32 v7, v5, v7, vcc
	v_cmp_ne_u32_e32 vcc, 0, v4
	v_cndmask_b32_e64 v4, 0, 1, vcc
	v_lshl_or_b32 v4, v4, 9, v5
	v_cmp_eq_u32_e32 vcc, s16, v6
	v_cndmask_b32_e32 v4, v7, v4, vcc
	v_and_or_b32 v0, v1, s18, v0
	v_lshrrev_b32_e32 v6, 16, v10
	v_cmp_ne_u32_e32 vcc, 0, v0
	v_and_or_b32 v4, v6, s10, v4
	v_cndmask_b32_e64 v0, 0, 1, vcc
	v_lshrrev_b32_e32 v6, 8, v1
	v_bfe_u32 v7, v1, 20, 11
	v_and_or_b32 v0, v6, s17, v0
	v_sub_u32_e32 v8, 0x3f1, v7
	v_or_b32_e32 v6, 0x1000, v0
	v_med3_i32 v8, v8, 0, 13
	v_lshrrev_b32_e32 v9, v8, v6
	v_lshlrev_b32_e32 v8, v8, v9
	v_cmp_ne_u32_e32 vcc, v8, v6
	v_cndmask_b32_e64 v6, 0, 1, vcc
	v_add_u32_e32 v7, 0xfffffc10, v7
	v_or_b32_e32 v6, v9, v6
	v_lshl_or_b32 v8, v7, 12, v0
	v_cmp_gt_i32_e32 vcc, 1, v7
	v_cndmask_b32_e32 v6, v8, v6, vcc
	v_and_b32_e32 v8, 7, v6
	v_cmp_lt_i32_e32 vcc, 5, v8
	v_cmp_eq_u32_e64 s[0:1], 3, v8
	v_lshrrev_b32_e32 v8, 16, v12
	v_lshrrev_b32_e32 v6, 2, v6
	s_or_b64 vcc, s[0:1], vcc
	s_waitcnt vmcnt(2)
	v_mul_f16_sdwa v9, v8, v15 dst_sel:DWORD dst_unused:UNUSED_PAD src0_sel:DWORD src1_sel:WORD_1
	v_addc_co_u32_e32 v6, vcc, 0, v6, vcc
	v_fma_f16 v9, v12, v15, v9
	v_cmp_gt_i32_e32 vcc, 31, v7
	v_cvt_f32_f16_e32 v9, v9
	v_cndmask_b32_e32 v6, v5, v6, vcc
	v_cmp_ne_u32_e32 vcc, 0, v0
	v_cndmask_b32_e64 v0, 0, 1, vcc
	v_lshl_or_b32 v0, v0, 9, v5
	v_cmp_eq_u32_e32 vcc, s16, v7
	v_cndmask_b32_e32 v0, v6, v0, vcc
	v_cvt_f64_f32_e32 v[6:7], v9
	v_lshrrev_b32_e32 v1, 16, v1
	v_and_or_b32 v9, v1, s10, v0
	v_mov_b32_e32 v10, 0x70
	v_mul_f64 v[0:1], v[6:7], s[14:15]
	v_mad_u64_u32 v[2:3], s[0:1], s8, v10, v[2:3]
	v_and_b32_e32 v4, 0xffff, v4
	s_mul_i32 s0, s9, 0x70
	v_lshl_or_b32 v4, v9, 16, v4
	v_add_u32_e32 v3, s0, v3
	global_store_dword v[2:3], v4, off
	v_and_or_b32 v0, v1, s18, v0
	v_cmp_ne_u32_e32 vcc, 0, v0
	v_cndmask_b32_e64 v0, 0, 1, vcc
	v_lshrrev_b32_e32 v4, 8, v1
	v_bfe_u32 v6, v1, 20, 11
	v_and_or_b32 v0, v4, s17, v0
	v_sub_u32_e32 v7, 0x3f1, v6
	v_or_b32_e32 v4, 0x1000, v0
	v_med3_i32 v7, v7, 0, 13
	v_lshrrev_b32_e32 v9, v7, v4
	v_lshlrev_b32_e32 v7, v7, v9
	v_cmp_ne_u32_e32 vcc, v7, v4
	v_mul_f16_sdwa v7, v12, v15 dst_sel:DWORD dst_unused:UNUSED_PAD src0_sel:DWORD src1_sel:WORD_1
	v_cndmask_b32_e64 v4, 0, 1, vcc
	v_fma_f16 v7, v15, v8, -v7
	v_or_b32_e32 v4, v9, v4
	v_add_u32_e32 v9, 0xfffffc10, v6
	v_cvt_f32_f16_e32 v7, v7
	v_lshl_or_b32 v6, v9, 12, v0
	v_cmp_gt_i32_e32 vcc, 1, v9
	v_cndmask_b32_e32 v4, v6, v4, vcc
	v_and_b32_e32 v6, 7, v4
	v_cmp_lt_i32_e32 vcc, 5, v6
	v_cmp_eq_u32_e64 s[0:1], 3, v6
	v_cvt_f64_f32_e32 v[6:7], v7
	v_lshrrev_b32_e32 v4, 2, v4
	s_or_b64 vcc, s[0:1], vcc
	v_addc_co_u32_e32 v4, vcc, 0, v4, vcc
	v_mul_f64 v[6:7], v[6:7], s[14:15]
	v_cmp_gt_i32_e32 vcc, 31, v9
	v_cndmask_b32_e32 v4, v5, v4, vcc
	v_cmp_ne_u32_e32 vcc, 0, v0
	v_cndmask_b32_e64 v0, 0, 1, vcc
	v_lshl_or_b32 v0, v0, 9, v5
	v_cmp_eq_u32_e32 vcc, s16, v9
	v_cndmask_b32_e32 v0, v4, v0, vcc
	v_lshrrev_b32_e32 v1, 16, v1
	v_and_or_b32 v0, v1, s10, v0
	v_and_or_b32 v1, v7, s18, v6
	v_cmp_ne_u32_e32 vcc, 0, v1
	v_cndmask_b32_e64 v1, 0, 1, vcc
	v_lshrrev_b32_e32 v4, 8, v7
	v_bfe_u32 v6, v7, 20, 11
	v_and_or_b32 v1, v4, s17, v1
	v_sub_u32_e32 v8, 0x3f1, v6
	v_or_b32_e32 v4, 0x1000, v1
	v_med3_i32 v8, v8, 0, 13
	v_lshrrev_b32_e32 v9, v8, v4
	v_lshlrev_b32_e32 v8, v8, v9
	v_cmp_ne_u32_e32 vcc, v8, v4
	v_cndmask_b32_e64 v4, 0, 1, vcc
	v_add_u32_e32 v6, 0xfffffc10, v6
	v_or_b32_e32 v4, v9, v4
	v_lshl_or_b32 v8, v6, 12, v1
	v_cmp_gt_i32_e32 vcc, 1, v6
	v_cndmask_b32_e32 v4, v8, v4, vcc
	v_and_b32_e32 v8, 7, v4
	v_cmp_lt_i32_e32 vcc, 5, v8
	v_cmp_eq_u32_e64 s[0:1], 3, v8
	v_lshrrev_b32_e32 v4, 2, v4
	s_or_b64 vcc, s[0:1], vcc
	v_addc_co_u32_e32 v4, vcc, 0, v4, vcc
	v_cmp_gt_i32_e32 vcc, 31, v6
	v_cndmask_b32_e32 v4, v5, v4, vcc
	v_cmp_ne_u32_e32 vcc, 0, v1
	v_cndmask_b32_e64 v1, 0, 1, vcc
	v_lshl_or_b32 v1, v1, 9, v5
	v_cmp_eq_u32_e32 vcc, s16, v6
	v_cndmask_b32_e32 v1, v4, v1, vcc
	v_lshrrev_b32_e32 v4, 16, v7
	v_and_or_b32 v1, v4, s10, v1
	v_and_b32_e32 v0, 0xffff, v0
	v_lshl_or_b32 v4, v1, 16, v0
	v_mov_b32_e32 v1, s2
	v_add_co_u32_e32 v0, vcc, s3, v2
	v_addc_co_u32_e32 v1, vcc, v3, v1, vcc
	global_store_dword v[0:1], v4, off
.LBB0_23:
	s_endpgm
	.section	.rodata,"a",@progbits
	.p2align	6, 0x0
	.amdhsa_kernel bluestein_single_fwd_len154_dim1_half_op_CI_CI
		.amdhsa_group_segment_fixed_size 3080
		.amdhsa_private_segment_fixed_size 0
		.amdhsa_kernarg_size 104
		.amdhsa_user_sgpr_count 6
		.amdhsa_user_sgpr_private_segment_buffer 1
		.amdhsa_user_sgpr_dispatch_ptr 0
		.amdhsa_user_sgpr_queue_ptr 0
		.amdhsa_user_sgpr_kernarg_segment_ptr 1
		.amdhsa_user_sgpr_dispatch_id 0
		.amdhsa_user_sgpr_flat_scratch_init 0
		.amdhsa_user_sgpr_private_segment_size 0
		.amdhsa_uses_dynamic_stack 0
		.amdhsa_system_sgpr_private_segment_wavefront_offset 0
		.amdhsa_system_sgpr_workgroup_id_x 1
		.amdhsa_system_sgpr_workgroup_id_y 0
		.amdhsa_system_sgpr_workgroup_id_z 0
		.amdhsa_system_sgpr_workgroup_info 0
		.amdhsa_system_vgpr_workitem_id 0
		.amdhsa_next_free_vgpr 90
		.amdhsa_next_free_sgpr 29
		.amdhsa_reserve_vcc 1
		.amdhsa_reserve_flat_scratch 0
		.amdhsa_float_round_mode_32 0
		.amdhsa_float_round_mode_16_64 0
		.amdhsa_float_denorm_mode_32 3
		.amdhsa_float_denorm_mode_16_64 3
		.amdhsa_dx10_clamp 1
		.amdhsa_ieee_mode 1
		.amdhsa_fp16_overflow 0
		.amdhsa_exception_fp_ieee_invalid_op 0
		.amdhsa_exception_fp_denorm_src 0
		.amdhsa_exception_fp_ieee_div_zero 0
		.amdhsa_exception_fp_ieee_overflow 0
		.amdhsa_exception_fp_ieee_underflow 0
		.amdhsa_exception_fp_ieee_inexact 0
		.amdhsa_exception_int_div_zero 0
	.end_amdhsa_kernel
	.text
.Lfunc_end0:
	.size	bluestein_single_fwd_len154_dim1_half_op_CI_CI, .Lfunc_end0-bluestein_single_fwd_len154_dim1_half_op_CI_CI
                                        ; -- End function
	.section	.AMDGPU.csdata,"",@progbits
; Kernel info:
; codeLenInByte = 14900
; NumSgprs: 33
; NumVgprs: 90
; ScratchSize: 0
; MemoryBound: 0
; FloatMode: 240
; IeeeMode: 1
; LDSByteSize: 3080 bytes/workgroup (compile time only)
; SGPRBlocks: 4
; VGPRBlocks: 22
; NumSGPRsForWavesPerEU: 33
; NumVGPRsForWavesPerEU: 90
; Occupancy: 2
; WaveLimiterHint : 1
; COMPUTE_PGM_RSRC2:SCRATCH_EN: 0
; COMPUTE_PGM_RSRC2:USER_SGPR: 6
; COMPUTE_PGM_RSRC2:TRAP_HANDLER: 0
; COMPUTE_PGM_RSRC2:TGID_X_EN: 1
; COMPUTE_PGM_RSRC2:TGID_Y_EN: 0
; COMPUTE_PGM_RSRC2:TGID_Z_EN: 0
; COMPUTE_PGM_RSRC2:TIDIG_COMP_CNT: 0
	.type	__hip_cuid_3f4699fda97565c2,@object ; @__hip_cuid_3f4699fda97565c2
	.section	.bss,"aw",@nobits
	.globl	__hip_cuid_3f4699fda97565c2
__hip_cuid_3f4699fda97565c2:
	.byte	0                               ; 0x0
	.size	__hip_cuid_3f4699fda97565c2, 1

	.ident	"AMD clang version 19.0.0git (https://github.com/RadeonOpenCompute/llvm-project roc-6.4.0 25133 c7fe45cf4b819c5991fe208aaa96edf142730f1d)"
	.section	".note.GNU-stack","",@progbits
	.addrsig
	.addrsig_sym __hip_cuid_3f4699fda97565c2
	.amdgpu_metadata
---
amdhsa.kernels:
  - .args:
      - .actual_access:  read_only
        .address_space:  global
        .offset:         0
        .size:           8
        .value_kind:     global_buffer
      - .actual_access:  read_only
        .address_space:  global
        .offset:         8
        .size:           8
        .value_kind:     global_buffer
      - .actual_access:  read_only
        .address_space:  global
        .offset:         16
        .size:           8
        .value_kind:     global_buffer
      - .actual_access:  read_only
        .address_space:  global
        .offset:         24
        .size:           8
        .value_kind:     global_buffer
      - .actual_access:  read_only
        .address_space:  global
        .offset:         32
        .size:           8
        .value_kind:     global_buffer
      - .offset:         40
        .size:           8
        .value_kind:     by_value
      - .address_space:  global
        .offset:         48
        .size:           8
        .value_kind:     global_buffer
      - .address_space:  global
        .offset:         56
        .size:           8
        .value_kind:     global_buffer
      - .address_space:  global
        .offset:         64
        .size:           8
        .value_kind:     global_buffer
      - .address_space:  global
        .offset:         72
        .size:           8
        .value_kind:     global_buffer
      - .offset:         80
        .size:           4
        .value_kind:     by_value
      - .address_space:  global
        .offset:         88
        .size:           8
        .value_kind:     global_buffer
      - .address_space:  global
        .offset:         96
        .size:           8
        .value_kind:     global_buffer
    .group_segment_fixed_size: 3080
    .kernarg_segment_align: 8
    .kernarg_segment_size: 104
    .language:       OpenCL C
    .language_version:
      - 2
      - 0
    .max_flat_workgroup_size: 110
    .name:           bluestein_single_fwd_len154_dim1_half_op_CI_CI
    .private_segment_fixed_size: 0
    .sgpr_count:     33
    .sgpr_spill_count: 0
    .symbol:         bluestein_single_fwd_len154_dim1_half_op_CI_CI.kd
    .uniform_work_group_size: 1
    .uses_dynamic_stack: false
    .vgpr_count:     90
    .vgpr_spill_count: 0
    .wavefront_size: 64
amdhsa.target:   amdgcn-amd-amdhsa--gfx906
amdhsa.version:
  - 1
  - 2
...

	.end_amdgpu_metadata
